;; amdgpu-corpus repo=ROCm/rocFFT kind=compiled arch=gfx1201 opt=O3
	.text
	.amdgcn_target "amdgcn-amd-amdhsa--gfx1201"
	.amdhsa_code_object_version 6
	.protected	fft_rtc_fwd_len3240_factors_3_3_10_6_6_wgs_108_tpt_108_halfLds_dp_ip_CI_unitstride_sbrr_dirReg ; -- Begin function fft_rtc_fwd_len3240_factors_3_3_10_6_6_wgs_108_tpt_108_halfLds_dp_ip_CI_unitstride_sbrr_dirReg
	.globl	fft_rtc_fwd_len3240_factors_3_3_10_6_6_wgs_108_tpt_108_halfLds_dp_ip_CI_unitstride_sbrr_dirReg
	.p2align	8
	.type	fft_rtc_fwd_len3240_factors_3_3_10_6_6_wgs_108_tpt_108_halfLds_dp_ip_CI_unitstride_sbrr_dirReg,@function
fft_rtc_fwd_len3240_factors_3_3_10_6_6_wgs_108_tpt_108_halfLds_dp_ip_CI_unitstride_sbrr_dirReg: ; @fft_rtc_fwd_len3240_factors_3_3_10_6_6_wgs_108_tpt_108_halfLds_dp_ip_CI_unitstride_sbrr_dirReg
; %bb.0:
	s_clause 0x2
	s_load_b128 s[4:7], s[0:1], 0x0
	s_load_b64 s[8:9], s[0:1], 0x50
	s_load_b64 s[10:11], s[0:1], 0x18
	v_mul_u32_u24_e32 v1, 0x25f, v0
	v_mov_b32_e32 v3, 0
	s_delay_alu instid0(VALU_DEP_2) | instskip(NEXT) | instid1(VALU_DEP_1)
	v_lshrrev_b32_e32 v1, 16, v1
	v_add_nc_u32_e32 v5, ttmp9, v1
	v_mov_b32_e32 v1, 0
	v_mov_b32_e32 v2, 0
	;; [unrolled: 1-line block ×3, first 2 shown]
	s_wait_kmcnt 0x0
	v_cmp_lt_u64_e64 s2, s[6:7], 2
	s_delay_alu instid0(VALU_DEP_1)
	s_and_b32 vcc_lo, exec_lo, s2
	s_cbranch_vccnz .LBB0_8
; %bb.1:
	s_load_b64 s[2:3], s[0:1], 0x10
	v_mov_b32_e32 v1, 0
	v_mov_b32_e32 v2, 0
	s_add_nc_u64 s[12:13], s[10:11], 8
	s_mov_b64 s[14:15], 1
	s_wait_kmcnt 0x0
	s_add_nc_u64 s[16:17], s[2:3], 8
	s_mov_b32 s3, 0
.LBB0_2:                                ; =>This Inner Loop Header: Depth=1
	s_load_b64 s[18:19], s[16:17], 0x0
                                        ; implicit-def: $vgpr7_vgpr8
	s_mov_b32 s2, exec_lo
	s_wait_kmcnt 0x0
	v_or_b32_e32 v4, s19, v6
	s_delay_alu instid0(VALU_DEP_1)
	v_cmpx_ne_u64_e32 0, v[3:4]
	s_wait_alu 0xfffe
	s_xor_b32 s20, exec_lo, s2
	s_cbranch_execz .LBB0_4
; %bb.3:                                ;   in Loop: Header=BB0_2 Depth=1
	s_cvt_f32_u32 s2, s18
	s_cvt_f32_u32 s21, s19
	s_sub_nc_u64 s[24:25], 0, s[18:19]
	s_wait_alu 0xfffe
	s_delay_alu instid0(SALU_CYCLE_1) | instskip(SKIP_1) | instid1(SALU_CYCLE_2)
	s_fmamk_f32 s2, s21, 0x4f800000, s2
	s_wait_alu 0xfffe
	v_s_rcp_f32 s2, s2
	s_delay_alu instid0(TRANS32_DEP_1) | instskip(SKIP_1) | instid1(SALU_CYCLE_2)
	s_mul_f32 s2, s2, 0x5f7ffffc
	s_wait_alu 0xfffe
	s_mul_f32 s21, s2, 0x2f800000
	s_wait_alu 0xfffe
	s_delay_alu instid0(SALU_CYCLE_2) | instskip(SKIP_1) | instid1(SALU_CYCLE_2)
	s_trunc_f32 s21, s21
	s_wait_alu 0xfffe
	s_fmamk_f32 s2, s21, 0xcf800000, s2
	s_cvt_u32_f32 s23, s21
	s_wait_alu 0xfffe
	s_delay_alu instid0(SALU_CYCLE_1) | instskip(SKIP_1) | instid1(SALU_CYCLE_2)
	s_cvt_u32_f32 s22, s2
	s_wait_alu 0xfffe
	s_mul_u64 s[26:27], s[24:25], s[22:23]
	s_wait_alu 0xfffe
	s_mul_hi_u32 s29, s22, s27
	s_mul_i32 s28, s22, s27
	s_mul_hi_u32 s2, s22, s26
	s_mul_i32 s30, s23, s26
	s_wait_alu 0xfffe
	s_add_nc_u64 s[28:29], s[2:3], s[28:29]
	s_mul_hi_u32 s21, s23, s26
	s_mul_hi_u32 s31, s23, s27
	s_add_co_u32 s2, s28, s30
	s_wait_alu 0xfffe
	s_add_co_ci_u32 s2, s29, s21
	s_mul_i32 s26, s23, s27
	s_add_co_ci_u32 s27, s31, 0
	s_wait_alu 0xfffe
	s_add_nc_u64 s[26:27], s[2:3], s[26:27]
	s_wait_alu 0xfffe
	v_add_co_u32 v4, s2, s22, s26
	s_delay_alu instid0(VALU_DEP_1) | instskip(SKIP_1) | instid1(VALU_DEP_1)
	s_cmp_lg_u32 s2, 0
	s_add_co_ci_u32 s23, s23, s27
	v_readfirstlane_b32 s22, v4
	s_wait_alu 0xfffe
	s_delay_alu instid0(VALU_DEP_1)
	s_mul_u64 s[24:25], s[24:25], s[22:23]
	s_wait_alu 0xfffe
	s_mul_hi_u32 s27, s22, s25
	s_mul_i32 s26, s22, s25
	s_mul_hi_u32 s2, s22, s24
	s_mul_i32 s28, s23, s24
	s_wait_alu 0xfffe
	s_add_nc_u64 s[26:27], s[2:3], s[26:27]
	s_mul_hi_u32 s21, s23, s24
	s_mul_hi_u32 s22, s23, s25
	s_wait_alu 0xfffe
	s_add_co_u32 s2, s26, s28
	s_add_co_ci_u32 s2, s27, s21
	s_mul_i32 s24, s23, s25
	s_add_co_ci_u32 s25, s22, 0
	s_wait_alu 0xfffe
	s_add_nc_u64 s[24:25], s[2:3], s[24:25]
	s_wait_alu 0xfffe
	v_add_co_u32 v4, s2, v4, s24
	s_delay_alu instid0(VALU_DEP_1) | instskip(SKIP_1) | instid1(VALU_DEP_1)
	s_cmp_lg_u32 s2, 0
	s_add_co_ci_u32 s2, s23, s25
	v_mul_hi_u32 v13, v5, v4
	s_wait_alu 0xfffe
	v_mad_co_u64_u32 v[7:8], null, v5, s2, 0
	v_mad_co_u64_u32 v[9:10], null, v6, v4, 0
	;; [unrolled: 1-line block ×3, first 2 shown]
	s_delay_alu instid0(VALU_DEP_3) | instskip(SKIP_1) | instid1(VALU_DEP_4)
	v_add_co_u32 v4, vcc_lo, v13, v7
	s_wait_alu 0xfffd
	v_add_co_ci_u32_e32 v7, vcc_lo, 0, v8, vcc_lo
	s_delay_alu instid0(VALU_DEP_2) | instskip(SKIP_1) | instid1(VALU_DEP_2)
	v_add_co_u32 v4, vcc_lo, v4, v9
	s_wait_alu 0xfffd
	v_add_co_ci_u32_e32 v4, vcc_lo, v7, v10, vcc_lo
	s_wait_alu 0xfffd
	v_add_co_ci_u32_e32 v7, vcc_lo, 0, v12, vcc_lo
	s_delay_alu instid0(VALU_DEP_2) | instskip(SKIP_1) | instid1(VALU_DEP_2)
	v_add_co_u32 v4, vcc_lo, v4, v11
	s_wait_alu 0xfffd
	v_add_co_ci_u32_e32 v9, vcc_lo, 0, v7, vcc_lo
	s_delay_alu instid0(VALU_DEP_2) | instskip(SKIP_1) | instid1(VALU_DEP_3)
	v_mul_lo_u32 v10, s19, v4
	v_mad_co_u64_u32 v[7:8], null, s18, v4, 0
	v_mul_lo_u32 v11, s18, v9
	s_delay_alu instid0(VALU_DEP_2) | instskip(NEXT) | instid1(VALU_DEP_2)
	v_sub_co_u32 v7, vcc_lo, v5, v7
	v_add3_u32 v8, v8, v11, v10
	s_delay_alu instid0(VALU_DEP_1) | instskip(SKIP_1) | instid1(VALU_DEP_1)
	v_sub_nc_u32_e32 v10, v6, v8
	s_wait_alu 0xfffd
	v_subrev_co_ci_u32_e64 v10, s2, s19, v10, vcc_lo
	v_add_co_u32 v11, s2, v4, 2
	s_wait_alu 0xf1ff
	v_add_co_ci_u32_e64 v12, s2, 0, v9, s2
	v_sub_co_u32 v13, s2, v7, s18
	v_sub_co_ci_u32_e32 v8, vcc_lo, v6, v8, vcc_lo
	s_wait_alu 0xf1ff
	v_subrev_co_ci_u32_e64 v10, s2, 0, v10, s2
	s_delay_alu instid0(VALU_DEP_3) | instskip(NEXT) | instid1(VALU_DEP_3)
	v_cmp_le_u32_e32 vcc_lo, s18, v13
	v_cmp_eq_u32_e64 s2, s19, v8
	s_wait_alu 0xfffd
	v_cndmask_b32_e64 v13, 0, -1, vcc_lo
	v_cmp_le_u32_e32 vcc_lo, s19, v10
	s_wait_alu 0xfffd
	v_cndmask_b32_e64 v14, 0, -1, vcc_lo
	v_cmp_le_u32_e32 vcc_lo, s18, v7
	;; [unrolled: 3-line block ×3, first 2 shown]
	s_wait_alu 0xfffd
	v_cndmask_b32_e64 v15, 0, -1, vcc_lo
	v_cmp_eq_u32_e32 vcc_lo, s19, v10
	s_wait_alu 0xf1ff
	s_delay_alu instid0(VALU_DEP_2)
	v_cndmask_b32_e64 v7, v15, v7, s2
	s_wait_alu 0xfffd
	v_cndmask_b32_e32 v10, v14, v13, vcc_lo
	v_add_co_u32 v13, vcc_lo, v4, 1
	s_wait_alu 0xfffd
	v_add_co_ci_u32_e32 v14, vcc_lo, 0, v9, vcc_lo
	s_delay_alu instid0(VALU_DEP_3) | instskip(SKIP_2) | instid1(VALU_DEP_3)
	v_cmp_ne_u32_e32 vcc_lo, 0, v10
	s_wait_alu 0xfffd
	v_cndmask_b32_e32 v10, v13, v11, vcc_lo
	v_cndmask_b32_e32 v8, v14, v12, vcc_lo
	v_cmp_ne_u32_e32 vcc_lo, 0, v7
	s_wait_alu 0xfffd
	s_delay_alu instid0(VALU_DEP_2)
	v_dual_cndmask_b32 v7, v4, v10 :: v_dual_cndmask_b32 v8, v9, v8
.LBB0_4:                                ;   in Loop: Header=BB0_2 Depth=1
	s_wait_alu 0xfffe
	s_and_not1_saveexec_b32 s2, s20
	s_cbranch_execz .LBB0_6
; %bb.5:                                ;   in Loop: Header=BB0_2 Depth=1
	v_cvt_f32_u32_e32 v4, s18
	s_sub_co_i32 s20, 0, s18
	s_delay_alu instid0(VALU_DEP_1) | instskip(NEXT) | instid1(TRANS32_DEP_1)
	v_rcp_iflag_f32_e32 v4, v4
	v_mul_f32_e32 v4, 0x4f7ffffe, v4
	s_delay_alu instid0(VALU_DEP_1) | instskip(SKIP_1) | instid1(VALU_DEP_1)
	v_cvt_u32_f32_e32 v4, v4
	s_wait_alu 0xfffe
	v_mul_lo_u32 v7, s20, v4
	s_delay_alu instid0(VALU_DEP_1) | instskip(NEXT) | instid1(VALU_DEP_1)
	v_mul_hi_u32 v7, v4, v7
	v_add_nc_u32_e32 v4, v4, v7
	s_delay_alu instid0(VALU_DEP_1) | instskip(NEXT) | instid1(VALU_DEP_1)
	v_mul_hi_u32 v4, v5, v4
	v_mul_lo_u32 v7, v4, s18
	v_add_nc_u32_e32 v8, 1, v4
	s_delay_alu instid0(VALU_DEP_2) | instskip(NEXT) | instid1(VALU_DEP_1)
	v_sub_nc_u32_e32 v7, v5, v7
	v_subrev_nc_u32_e32 v9, s18, v7
	v_cmp_le_u32_e32 vcc_lo, s18, v7
	s_wait_alu 0xfffd
	s_delay_alu instid0(VALU_DEP_2) | instskip(NEXT) | instid1(VALU_DEP_1)
	v_dual_cndmask_b32 v7, v7, v9 :: v_dual_cndmask_b32 v4, v4, v8
	v_cmp_le_u32_e32 vcc_lo, s18, v7
	s_delay_alu instid0(VALU_DEP_2) | instskip(SKIP_1) | instid1(VALU_DEP_1)
	v_add_nc_u32_e32 v8, 1, v4
	s_wait_alu 0xfffd
	v_dual_cndmask_b32 v7, v4, v8 :: v_dual_mov_b32 v8, v3
.LBB0_6:                                ;   in Loop: Header=BB0_2 Depth=1
	s_wait_alu 0xfffe
	s_or_b32 exec_lo, exec_lo, s2
	s_load_b64 s[20:21], s[12:13], 0x0
	s_delay_alu instid0(VALU_DEP_1)
	v_mul_lo_u32 v4, v8, s18
	v_mul_lo_u32 v11, v7, s19
	v_mad_co_u64_u32 v[9:10], null, v7, s18, 0
	s_add_nc_u64 s[14:15], s[14:15], 1
	s_add_nc_u64 s[12:13], s[12:13], 8
	s_wait_alu 0xfffe
	v_cmp_ge_u64_e64 s2, s[14:15], s[6:7]
	s_add_nc_u64 s[16:17], s[16:17], 8
	s_delay_alu instid0(VALU_DEP_2) | instskip(NEXT) | instid1(VALU_DEP_3)
	v_add3_u32 v4, v10, v11, v4
	v_sub_co_u32 v5, vcc_lo, v5, v9
	s_wait_alu 0xfffd
	s_delay_alu instid0(VALU_DEP_2) | instskip(SKIP_3) | instid1(VALU_DEP_2)
	v_sub_co_ci_u32_e32 v4, vcc_lo, v6, v4, vcc_lo
	s_and_b32 vcc_lo, exec_lo, s2
	s_wait_kmcnt 0x0
	v_mul_lo_u32 v6, s21, v5
	v_mul_lo_u32 v4, s20, v4
	v_mad_co_u64_u32 v[1:2], null, s20, v5, v[1:2]
	s_delay_alu instid0(VALU_DEP_1)
	v_add3_u32 v2, v6, v2, v4
	s_wait_alu 0xfffe
	s_cbranch_vccnz .LBB0_9
; %bb.7:                                ;   in Loop: Header=BB0_2 Depth=1
	v_dual_mov_b32 v5, v7 :: v_dual_mov_b32 v6, v8
	s_branch .LBB0_2
.LBB0_8:
	v_dual_mov_b32 v8, v6 :: v_dual_mov_b32 v7, v5
.LBB0_9:
	s_lshl_b64 s[2:3], s[6:7], 3
	v_mul_hi_u32 v5, 0x25ed098, v0
	s_wait_alu 0xfffe
	s_add_nc_u64 s[2:3], s[10:11], s[2:3]
                                        ; implicit-def: $vgpr100_vgpr101
                                        ; implicit-def: $vgpr112_vgpr113
                                        ; implicit-def: $vgpr104_vgpr105
                                        ; implicit-def: $vgpr92_vgpr93
                                        ; implicit-def: $vgpr108_vgpr109
                                        ; implicit-def: $vgpr96_vgpr97
                                        ; implicit-def: $vgpr72_vgpr73
                                        ; implicit-def: $vgpr88_vgpr89
                                        ; implicit-def: $vgpr80_vgpr81
                                        ; implicit-def: $vgpr64_vgpr65
                                        ; implicit-def: $vgpr84_vgpr85
                                        ; implicit-def: $vgpr68_vgpr69
                                        ; implicit-def: $vgpr36_vgpr37
                                        ; implicit-def: $vgpr56_vgpr57
                                        ; implicit-def: $vgpr52_vgpr53
                                        ; implicit-def: $vgpr48_vgpr49
                                        ; implicit-def: $vgpr60_vgpr61
                                        ; implicit-def: $vgpr32_vgpr33
                                        ; implicit-def: $vgpr16_vgpr17
                                        ; implicit-def: $vgpr28_vgpr29
                                        ; implicit-def: $vgpr20_vgpr21
                                        ; implicit-def: $vgpr76_vgpr77
                                        ; implicit-def: $vgpr120_vgpr121
                                        ; implicit-def: $vgpr44_vgpr45
                                        ; implicit-def: $vgpr40_vgpr41
                                        ; implicit-def: $vgpr116_vgpr117
                                        ; implicit-def: $vgpr24_vgpr25
                                        ; implicit-def: $vgpr12_vgpr13
	s_load_b64 s[2:3], s[2:3], 0x0
	s_load_b64 s[0:1], s[0:1], 0x20
	s_wait_kmcnt 0x0
	v_mul_lo_u32 v3, s2, v8
	v_mul_lo_u32 v4, s3, v7
	v_mad_co_u64_u32 v[1:2], null, s2, v7, v[1:2]
	v_cmp_gt_u64_e32 vcc_lo, s[0:1], v[7:8]
                                        ; implicit-def: $vgpr8_vgpr9
	s_delay_alu instid0(VALU_DEP_2) | instskip(SKIP_1) | instid1(VALU_DEP_2)
	v_add3_u32 v2, v4, v2, v3
	v_mul_u32_u24_e32 v3, 0x6c, v5
                                        ; implicit-def: $vgpr4_vgpr5
	v_lshlrev_b64_e32 v[178:179], 4, v[1:2]
	s_delay_alu instid0(VALU_DEP_2)
	v_sub_nc_u32_e32 v176, v0, v3
	s_and_saveexec_b32 s1, vcc_lo
; %bb.10:
	v_mov_b32_e32 v177, 0
	s_delay_alu instid0(VALU_DEP_3) | instskip(SKIP_2) | instid1(VALU_DEP_3)
	v_add_co_u32 v2, s0, s8, v178
	s_wait_alu 0xf1ff
	v_add_co_ci_u32_e64 v3, s0, s9, v179, s0
	v_lshlrev_b64_e32 v[0:1], 4, v[176:177]
	s_delay_alu instid0(VALU_DEP_1) | instskip(SKIP_1) | instid1(VALU_DEP_2)
	v_add_co_u32 v0, s0, v2, v0
	s_wait_alu 0xf1ff
	v_add_co_ci_u32_e64 v1, s0, v3, v1, s0
	s_clause 0x1d
	global_load_b128 v[2:5], v[0:1], off
	global_load_b128 v[22:25], v[0:1], off offset:1728
	global_load_b128 v[6:9], v[0:1], off offset:17280
	;; [unrolled: 1-line block ×29, first 2 shown]
; %bb.11:
	s_wait_alu 0xfffe
	s_or_b32 exec_lo, exec_lo, s1
	s_wait_loadcnt 0x18
	v_add_f64_e32 v[0:1], v[38:39], v[114:115]
	s_wait_loadcnt 0x13
	v_add_f64_e32 v[122:123], v[74:75], v[118:119]
	;; [unrolled: 2-line block ×4, first 2 shown]
	v_add_f64_e32 v[128:129], v[10:11], v[6:7]
	s_wait_loadcnt 0xc
	v_add_f64_e32 v[130:131], v[34:35], v[54:55]
	s_wait_loadcnt 0x7
	;; [unrolled: 2-line block ×5, first 2 shown]
	v_add_f64_e32 v[138:139], v[98:99], v[110:111]
	v_add_f64_e32 v[140:141], v[114:115], v[22:23]
	v_add_f64_e64 v[142:143], v[116:117], -v[40:41]
	v_add_f64_e32 v[144:145], v[118:119], v[42:43]
	v_add_f64_e32 v[160:161], v[54:55], v[50:51]
	v_add_f64_e64 v[146:147], v[120:121], -v[76:77]
	;; [unrolled: 3-line block ×5, first 2 shown]
	s_mov_b32 s2, 0xe8584caa
	s_mov_b32 s3, 0x3febb67a
	v_add_f64_e64 v[114:115], v[114:115], -v[38:39]
	v_add_f64_e64 v[118:119], v[118:119], -v[74:75]
	s_mov_b32 s7, 0xbfebb67a
	s_wait_alu 0xfffe
	s_mov_b32 s6, s2
	v_mad_u32_u24 v170, v176, 24, 0
	v_lshl_add_u32 v177, v176, 3, 0
	v_add_nc_u16 v203, v176, 0x6c
	v_add_nc_u32_e32 v202, 0xd8, v176
	v_add_nc_u32_e32 v200, 0x144, v176
	;; [unrolled: 1-line block ×5, first 2 shown]
	v_fma_f64 v[0:1], v[0:1], -0.5, v[22:23]
	v_fma_f64 v[22:23], v[122:123], -0.5, v[42:43]
	;; [unrolled: 1-line block ×5, first 2 shown]
	v_add_f64_e64 v[122:123], v[56:57], -v[36:37]
	v_fma_f64 v[50:51], v[130:131], -0.5, v[50:51]
	v_add_f64_e64 v[124:125], v[84:85], -v[64:65]
	v_fma_f64 v[66:67], v[132:133], -0.5, v[66:67]
	;; [unrolled: 2-line block ×3, first 2 shown]
	v_add_f64_e64 v[128:129], v[108:109], -v[92:93]
	v_add_f64_e32 v[130:131], v[110:111], v[102:103]
	v_fma_f64 v[94:95], v[136:137], -0.5, v[94:95]
	v_add_f64_e64 v[132:133], v[112:113], -v[100:101]
	v_fma_f64 v[102:103], v[138:139], -0.5, v[102:103]
	v_add_f64_e32 v[38:39], v[38:39], v[140:141]
	v_add_f64_e32 v[74:75], v[74:75], v[144:145]
	v_add_f64_e32 v[144:145], v[34:35], v[160:161]
	v_add_f64_e32 v[136:137], v[14:15], v[148:149]
	v_add_f64_e32 v[148:149], v[62:63], v[162:163]
	v_add_f64_e32 v[138:139], v[46:47], v[152:153]
	v_add_f64_e32 v[152:153], v[70:71], v[164:165]
	v_add_f64_e32 v[42:43], v[116:117], v[24:25]
	v_add_f64_e32 v[116:117], v[40:41], v[116:117]
	v_add_f64_e32 v[140:141], v[10:11], v[158:159]
	v_add_f64_e32 v[158:159], v[90:91], v[166:167]
	v_add_f64_e32 v[134:135], v[120:121], v[44:45]
	v_add_f64_e32 v[120:121], v[76:77], v[120:121]
	v_add_nc_u32_e32 v174, 0x2880, v170
	v_add_nc_u32_e32 v175, 0x32a8, v170
	;; [unrolled: 1-line block ×6, first 2 shown]
	v_add_f64_e64 v[62:63], v[82:83], -v[62:63]
	v_add_f64_e64 v[70:71], v[86:87], -v[70:71]
	v_add_f64_e32 v[82:83], v[108:109], v[96:97]
	v_fma_f64 v[160:161], v[142:143], s[2:3], v[0:1]
	v_fma_f64 v[162:163], v[146:147], s[2:3], v[22:23]
	;; [unrolled: 1-line block ×5, first 2 shown]
	s_wait_alu 0xfffe
	v_fma_f64 v[2:3], v[156:157], s[6:7], v[2:3]
	v_fma_f64 v[0:1], v[142:143], s[6:7], v[0:1]
	;; [unrolled: 1-line block ×11, first 2 shown]
	v_add_f64_e32 v[126:127], v[98:99], v[130:131]
	v_fma_f64 v[130:131], v[128:129], s[2:3], v[94:95]
	v_fma_f64 v[94:95], v[128:129], s[6:7], v[94:95]
	;; [unrolled: 1-line block ×4, first 2 shown]
	v_add_f64_e32 v[132:133], v[12:13], v[8:9]
	v_add_f64_e32 v[146:147], v[16:17], v[28:29]
	v_add_f64_e32 v[150:151], v[48:49], v[60:61]
	v_add_f64_e32 v[154:155], v[36:37], v[56:57]
	v_add_f64_e32 v[156:157], v[40:41], v[42:43]
	v_fma_f64 v[40:41], v[116:117], -0.5, v[24:25]
	v_add_f64_e32 v[24:25], v[92:93], v[108:109]
	v_fma_f64 v[42:43], v[120:121], -0.5, v[44:45]
	v_add_f64_e32 v[28:29], v[28:29], v[20:21]
	v_add_f64_e64 v[116:117], v[54:55], -v[34:35]
	v_add_f64_e64 v[86:87], v[106:107], -v[90:91]
	v_add_f64_e32 v[90:91], v[112:113], v[104:105]
	v_add_f64_e32 v[76:77], v[76:77], v[134:135]
	v_add_nc_u32_e32 v189, 0x2000, v177
	v_add_nc_u32_e32 v196, 0x5000, v177
	v_add_nc_u32_e32 v192, 0x3400, v177
	v_add_nc_u32_e32 v185, 0x5400, v177
	ds_store_2addr_b64 v171, v[38:39], v[160:161] offset1:1
	ds_store_2addr_b64 v172, v[74:75], v[162:163] offset1:1
	;; [unrolled: 1-line block ×5, first 2 shown]
	ds_store_b64 v170, v[2:3] offset:16
	ds_store_b64 v170, v[0:1] offset:2608
	;; [unrolled: 1-line block ×6, first 2 shown]
	ds_store_2addr_b64 v175, v[142:143], v[50:51] offset1:1
	ds_store_b64 v170, v[148:149] offset:15552
	ds_store_2addr_b64 v180, v[122:123], v[66:67] offset1:1
	ds_store_b64 v170, v[152:153] offset:18144
	;; [unrolled: 2-line block ×3, first 2 shown]
	v_add_f64_e32 v[18:19], v[64:65], v[84:85]
	v_add_f64_e32 v[22:23], v[72:73], v[88:89]
	;; [unrolled: 1-line block ×4, first 2 shown]
	v_add_f64_e64 v[50:51], v[6:7], -v[10:11]
	v_add_f64_e64 v[74:75], v[26:27], -v[14:15]
	ds_store_2addr_b64 v182, v[130:131], v[94:95] offset1:1
	ds_store_b64 v170, v[126:127] offset:23328
	ds_store_2addr_b64 v183, v[128:129], v[102:103] offset1:1
	v_add_f64_e32 v[14:15], v[60:61], v[32:33]
	v_add_f64_e64 v[60:61], v[58:59], -v[46:47]
	v_fma_f64 v[66:67], v[132:133], -0.5, v[4:5]
	v_fma_f64 v[78:79], v[146:147], -0.5, v[20:21]
	v_fma_f64 v[94:95], v[150:151], -0.5, v[32:33]
	v_add_f64_e32 v[102:103], v[56:57], v[52:53]
	v_add_f64_e32 v[84:85], v[84:85], v[68:69]
	v_fma_f64 v[120:121], v[154:155], -0.5, v[52:53]
	v_and_b32_e32 v140, 0xff, v176
	v_fma_f64 v[106:107], v[118:119], s[6:7], v[42:43]
	v_fma_f64 v[118:119], v[118:119], s[2:3], v[42:43]
	v_add_f64_e32 v[112:113], v[16:17], v[28:29]
	v_add_nc_u32_e32 v193, 0x1800, v177
	v_and_b32_e32 v205, 0xff, v203
	v_add_nc_u32_e32 v187, 0x4000, v177
	v_add_nc_u32_e32 v191, 0x1000, v177
	;; [unrolled: 1-line block ×6, first 2 shown]
	v_fma_f64 v[18:19], v[18:19], -0.5, v[68:69]
	v_add_f64_e32 v[68:69], v[88:89], v[80:81]
	v_fma_f64 v[80:81], v[22:23], -0.5, v[80:81]
	v_fma_f64 v[88:89], v[24:25], -0.5, v[96:97]
	v_add_f64_e64 v[96:97], v[110:111], -v[98:99]
	v_fma_f64 v[98:99], v[30:31], -0.5, v[104:105]
	v_fma_f64 v[104:105], v[114:115], s[6:7], v[40:41]
	v_add_f64_e32 v[108:109], v[12:13], v[38:39]
	v_fma_f64 v[114:115], v[114:115], s[2:3], v[40:41]
	v_add_nc_u32_e32 v188, 0x4800, v177
	global_wb scope:SCOPE_SE
	s_wait_dscnt 0x0
	s_barrier_signal -1
	s_barrier_wait -1
	global_inv scope:SCOPE_SE
	ds_load_2addr_b64 v[0:3], v177 offset1:108
	v_add_nc_u32_e32 v190, 0xc00, v177
	v_add_nc_u32_e32 v194, 0x2c00, v177
	ds_load_2addr_b64 v[56:59], v189 offset0:56 offset1:164
	ds_load_2addr_b64 v[52:55], v187 offset0:112 offset1:220
	;; [unrolled: 1-line block ×7, first 2 shown]
	v_add_f64_e32 v[122:123], v[48:49], v[14:15]
	ds_load_2addr_b64 v[24:27], v196 offset0:32 offset1:140
	ds_load_2addr_b64 v[12:15], v191 offset0:136 offset1:244
	v_fma_f64 v[110:111], v[50:51], s[6:7], v[66:67]
	v_fma_f64 v[66:67], v[50:51], s[2:3], v[66:67]
	;; [unrolled: 1-line block ×6, first 2 shown]
	v_add_f64_e32 v[78:79], v[36:37], v[102:103]
	v_add_f64_e32 v[64:65], v[64:65], v[84:85]
	v_fma_f64 v[94:95], v[116:117], s[6:7], v[120:121]
	v_fma_f64 v[102:103], v[116:117], s[2:3], v[120:121]
	ds_load_2addr_b64 v[28:31], v192 offset0:64 offset1:172
	ds_load_2addr_b64 v[36:39], v185 offset0:120 offset1:228
	v_and_b32_e32 v204, 0xffff, v202
	v_and_b32_e32 v201, 0xffff, v200
	v_add_nc_u32_e32 v198, 0x1b0, v176
	s_mov_b32 s16, 0x134454ff
	s_mov_b32 s17, 0x3fee6f0e
	s_mov_b32 s1, 0xbfee6f0e
	v_fma_f64 v[84:85], v[62:63], s[6:7], v[18:19]
	v_add_f64_e32 v[68:69], v[72:73], v[68:69]
	v_fma_f64 v[62:63], v[62:63], s[2:3], v[18:19]
	v_fma_f64 v[72:73], v[70:71], s[6:7], v[80:81]
	;; [unrolled: 1-line block ×3, first 2 shown]
	v_add_f64_e32 v[80:81], v[92:93], v[82:83]
	v_fma_f64 v[82:83], v[86:87], s[6:7], v[88:89]
	v_fma_f64 v[86:87], v[86:87], s[2:3], v[88:89]
	v_add_f64_e32 v[88:89], v[100:101], v[90:91]
	v_fma_f64 v[90:91], v[96:97], s[6:7], v[98:99]
	v_fma_f64 v[92:93], v[96:97], s[2:3], v[98:99]
	v_mul_lo_u16 v96, 0xab, v140
	ds_load_2addr_b64 v[16:19], v193 offset0:96 offset1:204
	ds_load_2addr_b64 v[48:51], v197 offset0:24 offset1:132
	;; [unrolled: 1-line block ×3, first 2 shown]
	global_wb scope:SCOPE_SE
	s_wait_dscnt 0x0
	s_barrier_signal -1
	s_barrier_wait -1
	v_lshrrev_b16 v144, 9, v96
	global_inv scope:SCOPE_SE
	ds_store_2addr_b64 v170, v[108:109], v[110:111] offset1:1
	ds_store_b64 v170, v[66:67] offset:16
	ds_store_2addr_b64 v171, v[156:157], v[104:105] offset1:1
	ds_store_2addr_b64 v172, v[76:77], v[106:107] offset1:1
	;; [unrolled: 1-line block ×4, first 2 shown]
	ds_store_b64 v170, v[114:115] offset:2608
	ds_store_b64 v170, v[118:119] offset:5200
	;; [unrolled: 1-line block ×4, first 2 shown]
	v_mul_lo_u16 v60, v144, 3
	v_mul_lo_u16 v61, 0xab, v205
	ds_store_b64 v170, v[78:79] offset:12960
	ds_store_2addr_b64 v175, v[94:95], v[102:103] offset1:1
	v_sub_nc_u16 v60, v176, v60
	v_lshrrev_b16 v143, 9, v61
	v_mul_u32_u24_e32 v61, 0xaaab, v201
	v_and_b32_e32 v199, 0xffff, v198
	v_and_b32_e32 v144, 0xffff, v144
	;; [unrolled: 1-line block ×3, first 2 shown]
	v_mul_lo_u16 v60, v143, 3
	ds_store_b64 v170, v[64:65] offset:15552
	ds_store_2addr_b64 v180, v[84:85], v[62:63] offset1:1
	v_sub_nc_u16 v60, v203, v60
	ds_store_b64 v170, v[68:69] offset:18144
	ds_store_2addr_b64 v181, v[72:73], v[70:71] offset1:1
	v_lshlrev_b32_e32 v64, 5, v141
	v_add_nc_u32_e32 v84, 0x21c, v176
	ds_store_b64 v170, v[80:81] offset:20736
	v_and_b32_e32 v142, 0xff, v60
	v_mul_u32_u24_e32 v60, 0xaaab, v204
	ds_store_2addr_b64 v182, v[82:83], v[86:87] offset1:1
	ds_store_b64 v170, v[88:89] offset:23328
	ds_store_2addr_b64 v183, v[90:91], v[92:93] offset1:1
	global_wb scope:SCOPE_SE
	s_wait_dscnt 0x0
	v_lshlrev_b32_e32 v68, 5, v142
	s_barrier_signal -1
	s_barrier_wait -1
	global_inv scope:SCOPE_SE
	v_lshrrev_b32_e32 v149, 17, v60
	v_lshrrev_b32_e32 v147, 17, v61
	s_clause 0x1
	global_load_b128 v[60:63], v68, s[4:5]
	global_load_b128 v[72:75], v64, s[4:5]
	v_mul_u32_u24_e32 v67, 0xaaab, v199
	v_and_b32_e32 v69, 0xffff, v84
	v_mul_lo_u16 v65, v149, 3
	v_mul_lo_u16 v66, v147, 3
	v_add_nc_u32_e32 v89, 0x2f4, v176
	v_lshrrev_b32_e32 v151, 17, v67
	v_mul_u32_u24_e32 v76, 0xaaab, v69
	v_sub_nc_u16 v70, v202, v65
	v_sub_nc_u16 v71, v200, v66
	global_load_b128 v[64:67], v64, s[4:5] offset:16
	v_mul_lo_u16 v77, v151, 3
	v_lshrrev_b32_e32 v150, 17, v76
	v_and_b32_e32 v145, 0xffff, v70
	v_and_b32_e32 v146, 0xffff, v71
	global_load_b128 v[68:71], v68, s[4:5] offset:16
	v_sub_nc_u16 v86, v198, v77
	v_add_nc_u32_e32 v87, 0x288, v176
	v_mul_lo_u16 v88, v150, 3
	v_lshlrev_b32_e32 v76, 5, v145
	v_lshlrev_b32_e32 v85, 5, v146
	v_and_b32_e32 v148, 0xffff, v86
	v_and_b32_e32 v86, 0xffff, v89
	;; [unrolled: 1-line block ×3, first 2 shown]
	v_sub_nc_u16 v84, v84, v88
	v_add_nc_u32_e32 v88, 0x360, v176
	s_clause 0x1
	global_load_b128 v[80:83], v76, s[4:5]
	global_load_b128 v[76:79], v76, s[4:5] offset:16
	v_mul_u32_u24_e32 v86, 0xaaab, v86
	v_add_nc_u32_e32 v93, 0x3cc, v176
	s_clause 0x1
	global_load_b128 v[128:131], v85, s[4:5]
	global_load_b128 v[124:127], v85, s[4:5] offset:16
	v_mul_u32_u24_e32 v90, 0xaaab, v90
	v_and_b32_e32 v91, 0xffff, v88
	v_lshrrev_b32_e32 v165, 17, v86
	v_and_b32_e32 v86, 0xffff, v93
	v_and_b32_e32 v168, 0xffff, v84
	v_lshrrev_b32_e32 v164, 17, v90
	v_mul_u32_u24_e32 v90, 0xaaab, v91
	v_mul_lo_u16 v91, v165, 3
	v_mul_u32_u24_e32 v86, 0xaaab, v86
	v_lshlrev_b32_e32 v92, 5, v148
	v_mul_lo_u16 v85, v164, 3
	v_lshrrev_b32_e32 v166, 17, v90
	v_lshlrev_b32_e32 v94, 5, v168
	v_lshrrev_b32_e32 v167, 17, v86
	v_mul_u32_u24_e32 v144, 0x48, v144
	v_sub_nc_u16 v84, v87, v85
	v_mul_lo_u16 v86, v166, 3
	v_sub_nc_u16 v85, v89, v91
	v_mul_lo_u16 v95, v167, 3
	v_and_b32_e32 v143, 0xffff, v143
	v_and_b32_e32 v169, 0xffff, v84
	v_sub_nc_u16 v96, v88, v86
	v_and_b32_e32 v218, 0xffff, v85
	v_sub_nc_u16 v101, v93, v95
	s_clause 0x1
	global_load_b128 v[88:91], v92, s[4:5]
	global_load_b128 v[84:87], v92, s[4:5] offset:16
	v_lshlrev_b32_e32 v100, 5, v169
	v_and_b32_e32 v219, 0xffff, v96
	v_lshlrev_b32_e32 v108, 5, v218
	s_clause 0x1
	global_load_b128 v[96:99], v94, s[4:5]
	global_load_b128 v[92:95], v94, s[4:5] offset:16
	v_and_b32_e32 v220, 0xffff, v101
	s_clause 0x1
	global_load_b128 v[104:107], v100, s[4:5]
	global_load_b128 v[100:103], v100, s[4:5] offset:16
	v_lshlrev_b32_e32 v132, 5, v219
	global_load_b128 v[116:119], v108, s[4:5]
	v_mul_u32_u24_e32 v221, 0x48, v164
	v_lshlrev_b32_e32 v136, 5, v220
	s_clause 0x4
	global_load_b128 v[112:115], v108, s[4:5] offset:16
	global_load_b128 v[108:111], v132, s[4:5]
	global_load_b128 v[120:123], v136, s[4:5]
	global_load_b128 v[132:135], v132, s[4:5] offset:16
	global_load_b128 v[136:139], v136, s[4:5] offset:16
	ds_load_2addr_b64 v[152:155], v189 offset0:56 offset1:164
	ds_load_2addr_b64 v[156:159], v187 offset0:112 offset1:220
	;; [unrolled: 1-line block ×3, first 2 shown]
	v_mul_u32_u24_e32 v222, 0x48, v165
	v_mul_u32_u24_e32 v223, 0x48, v166
	;; [unrolled: 1-line block ×3, first 2 shown]
	ds_load_2addr_b64 v[164:167], v188 offset0:72 offset1:180
	v_mul_u32_u24_e32 v147, 0x48, v147
	v_mul_u32_u24_e32 v149, 0x48, v149
	v_lshlrev_b32_e32 v225, 3, v148
	v_lshlrev_b32_e32 v226, 3, v168
	;; [unrolled: 1-line block ×3, first 2 shown]
	v_mul_u32_u24_e32 v151, 0x48, v151
	v_mul_u32_u24_e32 v150, 0x48, v150
	s_mov_b32 s0, s16
	s_mov_b32 s18, 0x4755a5e
	v_add3_u32 v232, 0, v221, v227
	s_mov_b32 s19, 0x3fe2cf23
	s_mov_b32 s11, 0xbfe2cf23
	s_wait_alu 0xfffe
	s_mov_b32 s10, s18
	s_mov_b32 s12, 0x372fe950
	;; [unrolled: 1-line block ×5, first 2 shown]
	s_wait_loadcnt_dscnt 0x1303
	v_mul_f64_e32 v[174:175], v[154:155], v[62:63]
	s_wait_loadcnt 0x12
	v_mul_f64_e32 v[172:173], v[152:153], v[74:75]
	v_mul_f64_e32 v[74:75], v[56:57], v[74:75]
	v_mul_f64_e32 v[180:181], v[58:59], v[62:63]
	v_lshlrev_b32_e32 v62, 3, v141
	v_mul_u32_u24_e32 v63, 0x48, v143
	s_delay_alu instid0(VALU_DEP_2)
	v_add3_u32 v230, 0, v144, v62
	v_lshlrev_b32_e32 v62, 3, v142
	s_wait_loadcnt_dscnt 0x1102
	v_mul_f64_e32 v[182:183], v[156:157], v[66:67]
	v_mul_f64_e32 v[66:67], v[52:53], v[66:67]
	ds_load_2addr_b64 v[141:144], v194 offset0:104 offset1:212
	v_add3_u32 v231, 0, v63, v62
	s_wait_loadcnt 0x10
	v_mul_f64_e32 v[206:207], v[158:159], v[70:71]
	v_mul_f64_e32 v[208:209], v[54:55], v[70:71]
	v_lshlrev_b32_e32 v71, 3, v146
	v_lshlrev_b32_e32 v70, 3, v145
	s_delay_alu instid0(VALU_DEP_2)
	v_add3_u32 v62, 0, v147, v71
	ds_load_2addr_b64 v[145:148], v196 offset0:32 offset1:140
	ds_load_2addr_b64 v[168:171], v192 offset0:64 offset1:172
	v_add3_u32 v63, 0, v149, v70
	s_wait_loadcnt_dscnt 0xf04
	v_mul_f64_e32 v[210:211], v[160:161], v[82:83]
	v_mul_f64_e32 v[82:83], v[44:45], v[82:83]
	s_wait_loadcnt_dscnt 0xe03
	v_mul_f64_e32 v[214:215], v[164:165], v[78:79]
	v_mul_f64_e32 v[78:79], v[32:33], v[78:79]
	s_wait_loadcnt 0xd
	v_mul_f64_e32 v[212:213], v[162:163], v[130:131]
	v_mul_f64_e32 v[130:131], v[46:47], v[130:131]
	s_wait_loadcnt 0xc
	v_mul_f64_e32 v[216:217], v[166:167], v[126:127]
	v_mul_f64_e32 v[126:127], v[34:35], v[126:127]
	v_fma_f64 v[174:175], v[58:59], v[60:61], -v[174:175]
	v_fma_f64 v[172:173], v[56:57], v[72:73], -v[172:173]
	v_fma_f64 v[74:75], v[152:153], v[72:73], v[74:75]
	ds_load_2addr_b64 v[70:73], v185 offset0:120 offset1:228
	v_fma_f64 v[153:154], v[154:155], v[60:61], v[180:181]
	ds_load_2addr_b64 v[58:61], v197 offset0:24 offset1:132
	v_add3_u32 v57, 0, v151, v225
	v_add3_u32 v56, 0, v150, v226
	ds_load_2addr_b64 v[149:152], v195 offset0:80 offset1:188
	v_lshlrev_b32_e32 v225, 3, v218
	v_lshlrev_b32_e32 v226, 3, v219
	v_fma_f64 v[52:53], v[52:53], v[64:65], -v[182:183]
	v_fma_f64 v[64:65], v[156:157], v[64:65], v[66:67]
	s_delay_alu instid0(VALU_DEP_4) | instskip(NEXT) | instid1(VALU_DEP_4)
	v_add3_u32 v233, 0, v222, v225
	v_add3_u32 v234, 0, v223, v226
	v_fma_f64 v[54:55], v[54:55], v[68:69], -v[206:207]
	s_wait_loadcnt_dscnt 0xb05
	v_mul_f64_e32 v[66:67], v[141:142], v[90:91]
	s_wait_loadcnt_dscnt 0xa04
	v_mul_f64_e32 v[180:181], v[145:146], v[86:87]
	v_fma_f64 v[68:69], v[158:159], v[68:69], v[208:209]
	v_mul_f64_e32 v[90:91], v[20:21], v[90:91]
	s_wait_loadcnt 0x9
	v_mul_f64_e32 v[155:156], v[143:144], v[98:99]
	s_wait_loadcnt 0x8
	v_mul_f64_e32 v[182:183], v[147:148], v[94:95]
	s_wait_loadcnt_dscnt 0x703
	v_mul_f64_e32 v[157:158], v[168:169], v[106:107]
	s_wait_loadcnt_dscnt 0x602
	v_mul_f64_e32 v[208:209], v[70:71], v[102:103]
	v_mul_f64_e32 v[86:87], v[24:25], v[86:87]
	s_wait_loadcnt 0x5
	v_mul_f64_e32 v[206:207], v[170:171], v[118:119]
	s_wait_loadcnt 0x4
	v_mul_f64_e32 v[218:219], v[72:73], v[114:115]
	v_fma_f64 v[44:45], v[44:45], v[80:81], -v[210:211]
	v_fma_f64 v[80:81], v[160:161], v[80:81], v[82:83]
	s_wait_loadcnt_dscnt 0x301
	v_mul_f64_e32 v[82:83], v[58:59], v[110:111]
	s_wait_loadcnt_dscnt 0x100
	v_mul_f64_e32 v[210:211], v[149:150], v[134:135]
	v_mul_f64_e32 v[159:160], v[60:61], v[122:123]
	v_fma_f64 v[46:47], v[46:47], v[128:129], -v[212:213]
	s_wait_loadcnt 0x0
	v_mul_f64_e32 v[212:213], v[151:152], v[138:139]
	v_fma_f64 v[128:129], v[162:163], v[128:129], v[130:131]
	v_mul_f64_e32 v[98:99], v[22:23], v[98:99]
	v_mul_f64_e32 v[94:95], v[26:27], v[94:95]
	v_fma_f64 v[130:131], v[32:33], v[76:77], -v[214:215]
	v_fma_f64 v[76:77], v[164:165], v[76:77], v[78:79]
	v_mul_f64_e32 v[78:79], v[28:29], v[106:107]
	v_mul_f64_e32 v[106:107], v[30:31], v[118:119]
	;; [unrolled: 1-line block ×3, first 2 shown]
	v_lshlrev_b32_e32 v161, 3, v220
	v_fma_f64 v[118:119], v[34:35], v[124:125], -v[216:217]
	v_fma_f64 v[124:125], v[166:167], v[124:125], v[126:127]
	v_mul_f64_e32 v[126:127], v[40:41], v[134:135]
	v_mul_f64_e32 v[134:135], v[42:43], v[138:139]
	v_add3_u32 v235, 0, v224, v161
	v_mul_f64_e32 v[122:123], v[50:51], v[122:123]
	v_mul_f64_e32 v[114:115], v[38:39], v[114:115]
	;; [unrolled: 1-line block ×3, first 2 shown]
	ds_load_2addr_b64 v[32:35], v177 offset1:108
	v_fma_f64 v[66:67], v[20:21], v[88:89], -v[66:67]
	v_fma_f64 v[138:139], v[22:23], v[96:97], -v[155:156]
	;; [unrolled: 1-line block ×8, first 2 shown]
	v_fma_f64 v[84:85], v[145:146], v[84:85], v[86:87]
	ds_load_2addr_b64 v[20:23], v184 offset0:88 offset1:196
	v_fma_f64 v[48:49], v[48:49], v[108:109], -v[82:83]
	v_fma_f64 v[40:41], v[40:41], v[132:133], -v[210:211]
	;; [unrolled: 1-line block ×3, first 2 shown]
	v_fma_f64 v[82:83], v[141:142], v[88:89], v[90:91]
	v_fma_f64 v[42:43], v[42:43], v[136:137], -v[212:213]
	v_add_f64_e32 v[90:91], v[174:175], v[54:55]
	v_fma_f64 v[86:87], v[143:144], v[96:97], v[98:99]
	v_fma_f64 v[141:142], v[147:148], v[92:93], v[94:95]
	v_add_f64_e32 v[96:97], v[44:45], v[130:131]
	v_add_f64_e32 v[92:93], v[74:75], v[64:65]
	v_fma_f64 v[78:79], v[168:169], v[104:105], v[78:79]
	v_fma_f64 v[88:89], v[170:171], v[116:117], v[106:107]
	;; [unrolled: 1-line block ×3, first 2 shown]
	v_add_f64_e32 v[70:71], v[172:173], v[52:53]
	v_add_f64_e32 v[98:99], v[46:47], v[118:119]
	;; [unrolled: 1-line block ×3, first 2 shown]
	ds_load_2addr_b64 v[24:27], v190 offset0:48 offset1:156
	v_add_f64_e32 v[100:101], v[80:81], v[76:77]
	ds_load_2addr_b64 v[28:31], v191 offset0:136 offset1:244
	ds_load_2addr_b64 v[36:39], v193 offset0:96 offset1:204
	v_fma_f64 v[60:61], v[60:61], v[120:121], v[122:123]
	v_fma_f64 v[72:73], v[72:73], v[112:113], v[114:115]
	;; [unrolled: 1-line block ×5, first 2 shown]
	v_add_f64_e32 v[102:103], v[128:129], v[124:125]
	v_add_f64_e32 v[112:113], v[0:1], v[172:173]
	v_add_f64_e64 v[114:115], v[74:75], -v[64:65]
	v_add_f64_e32 v[120:121], v[2:3], v[174:175]
	v_add_f64_e64 v[134:135], v[153:154], -v[68:69]
	v_add_f64_e32 v[145:146], v[8:9], v[44:45]
	v_add_f64_e32 v[104:105], v[66:67], v[155:156]
	;; [unrolled: 1-line block ×3, first 2 shown]
	v_add_f64_e64 v[147:148], v[80:81], -v[76:77]
	v_add_f64_e32 v[122:123], v[157:158], v[165:166]
	v_add_f64_e32 v[149:150], v[10:11], v[46:47]
	;; [unrolled: 1-line block ×3, first 2 shown]
	s_wait_dscnt 0x3
	v_add_f64_e32 v[151:152], v[22:23], v[128:129]
	v_add_f64_e64 v[128:129], v[128:129], -v[124:125]
	v_add_f64_e32 v[132:133], v[34:35], v[153:154]
	v_add_f64_e32 v[136:137], v[48:49], v[40:41]
	;; [unrolled: 1-line block ×5, first 2 shown]
	v_fma_f64 v[2:3], v[90:91], -0.5, v[2:3]
	v_add_f64_e64 v[159:160], v[82:83], -v[84:85]
	v_add_f64_e32 v[182:183], v[86:87], v[141:142]
	v_fma_f64 v[8:9], v[96:97], -0.5, v[8:9]
	v_add_f64_e32 v[167:168], v[6:7], v[138:139]
	s_wait_dscnt 0x2
	v_add_f64_e32 v[206:207], v[26:27], v[86:87]
	v_add_f64_e64 v[86:87], v[86:87], -v[141:142]
	v_add_f64_e32 v[208:209], v[12:13], v[157:158]
	v_fma_f64 v[0:1], v[70:71], -0.5, v[0:1]
	v_fma_f64 v[10:11], v[98:99], -0.5, v[10:11]
	v_add_f64_e64 v[218:219], v[78:79], -v[116:117]
	v_add_f64_e32 v[210:211], v[14:15], v[163:164]
	s_wait_dscnt 0x1
	v_add_f64_e32 v[222:223], v[30:31], v[88:89]
	v_add_f64_e32 v[214:215], v[16:17], v[48:49]
	;; [unrolled: 1-line block ×4, first 2 shown]
	v_add_f64_e64 v[88:89], v[88:89], -v[72:73]
	v_add_f64_e64 v[224:225], v[58:59], -v[108:109]
	v_add_f64_e32 v[216:217], v[18:19], v[50:51]
	v_add_f64_e64 v[171:172], v[172:173], -v[52:53]
	v_add_f64_e32 v[226:227], v[58:59], v[108:109]
	v_add_f64_e32 v[228:229], v[60:61], v[110:111]
	v_add_f64_e64 v[70:71], v[174:175], -v[54:55]
	s_wait_dscnt 0x0
	v_add_f64_e32 v[173:174], v[38:39], v[60:61]
	v_add_f64_e64 v[60:61], v[60:61], -v[110:111]
	v_fma_f64 v[4:5], v[104:105], -0.5, v[4:5]
	v_fma_f64 v[6:7], v[106:107], -0.5, v[6:7]
	v_add_f64_e32 v[74:75], v[32:33], v[74:75]
	v_fma_f64 v[12:13], v[122:123], -0.5, v[12:13]
	v_fma_f64 v[32:33], v[92:93], -0.5, v[32:33]
	;; [unrolled: 1-line block ×4, first 2 shown]
	v_add_f64_e32 v[80:81], v[20:21], v[80:81]
	v_add_f64_e64 v[44:45], v[44:45], -v[130:131]
	v_fma_f64 v[16:17], v[136:137], -0.5, v[16:17]
	v_fma_f64 v[20:21], v[100:101], -0.5, v[20:21]
	v_add_f64_e32 v[82:83], v[24:25], v[82:83]
	v_fma_f64 v[18:19], v[143:144], -0.5, v[18:19]
	v_add_f64_e64 v[66:67], v[66:67], -v[155:156]
	v_fma_f64 v[24:25], v[169:170], -0.5, v[24:25]
	v_add_f64_e64 v[46:47], v[46:47], -v[118:119]
	;; [unrolled: 2-line block ×3, first 2 shown]
	v_add_f64_e32 v[52:53], v[112:113], v[52:53]
	v_fma_f64 v[26:27], v[182:183], -0.5, v[26:27]
	v_add_f64_e32 v[54:55], v[120:121], v[54:55]
	v_fma_f64 v[102:103], v[114:115], s[2:3], v[0:1]
	v_fma_f64 v[0:1], v[114:115], s[6:7], v[0:1]
	v_fma_f64 v[104:105], v[134:135], s[2:3], v[2:3]
	v_fma_f64 v[2:3], v[134:135], s[6:7], v[2:3]
	v_add_f64_e32 v[90:91], v[145:146], v[130:131]
	v_fma_f64 v[106:107], v[147:148], s[2:3], v[8:9]
	v_fma_f64 v[8:9], v[147:148], s[6:7], v[8:9]
	v_add_f64_e32 v[92:93], v[149:150], v[118:119]
	v_fma_f64 v[112:113], v[128:129], s[2:3], v[10:11]
	v_fma_f64 v[10:11], v[128:129], s[6:7], v[10:11]
	v_add_f64_e32 v[94:95], v[153:154], v[155:156]
	v_add_f64_e32 v[96:97], v[167:168], v[161:162]
	;; [unrolled: 1-line block ×4, first 2 shown]
	v_add_f64_e64 v[48:49], v[48:49], -v[40:41]
	v_add_f64_e32 v[40:41], v[214:215], v[40:41]
	v_add_f64_e32 v[78:79], v[28:29], v[78:79]
	v_fma_f64 v[114:115], v[159:160], s[2:3], v[4:5]
	v_fma_f64 v[4:5], v[159:160], s[6:7], v[4:5]
	;; [unrolled: 1-line block ×8, first 2 shown]
	v_add_f64_e32 v[58:59], v[36:37], v[58:59]
	v_fma_f64 v[88:89], v[224:225], s[2:3], v[16:17]
	v_fma_f64 v[16:17], v[224:225], s[6:7], v[16:17]
	v_add_f64_e64 v[126:127], v[157:158], -v[165:166]
	v_add_f64_e64 v[136:137], v[163:164], -v[180:181]
	;; [unrolled: 1-line block ×3, first 2 shown]
	v_fma_f64 v[28:29], v[212:213], -0.5, v[28:29]
	v_add_f64_e32 v[42:43], v[216:217], v[42:43]
	v_fma_f64 v[128:129], v[60:61], s[2:3], v[18:19]
	v_fma_f64 v[30:31], v[220:221], -0.5, v[30:31]
	v_fma_f64 v[36:37], v[226:227], -0.5, v[36:37]
	;; [unrolled: 1-line block ×3, first 2 shown]
	v_fma_f64 v[18:19], v[60:61], s[6:7], v[18:19]
	v_add_f64_e32 v[60:61], v[74:75], v[64:65]
	v_fma_f64 v[134:135], v[171:172], s[6:7], v[32:33]
	v_fma_f64 v[32:33], v[171:172], s[2:3], v[32:33]
	v_add_f64_e32 v[64:65], v[132:133], v[68:69]
	v_fma_f64 v[138:139], v[70:71], s[6:7], v[34:35]
	;; [unrolled: 3-line block ×3, first 2 shown]
	v_add_f64_e32 v[132:133], v[82:83], v[84:85]
	v_fma_f64 v[44:45], v[44:45], s[2:3], v[20:21]
	v_fma_f64 v[147:148], v[66:67], s[6:7], v[24:25]
	v_add_f64_e32 v[124:125], v[151:152], v[124:125]
	v_fma_f64 v[145:146], v[46:47], s[6:7], v[22:23]
	v_fma_f64 v[24:25], v[66:67], s[2:3], v[24:25]
	global_wb scope:SCOPE_SE
	s_barrier_signal -1
	s_barrier_wait -1
	global_inv scope:SCOPE_SE
	v_fma_f64 v[46:47], v[46:47], s[2:3], v[22:23]
	ds_store_2addr_b64 v230, v[52:53], v[102:103] offset1:3
	ds_store_b64 v230, v[0:1] offset:48
	ds_store_2addr_b64 v231, v[54:55], v[104:105] offset1:3
	ds_store_b64 v231, v[2:3] offset:48
	;; [unrolled: 2-line block ×10, first 2 shown]
	v_add_f64_e32 v[40:41], v[206:207], v[141:142]
	v_fma_f64 v[42:43], v[122:123], s[6:7], v[26:27]
	v_fma_f64 v[26:27], v[122:123], s[2:3], v[26:27]
	v_add_f64_e32 v[52:53], v[78:79], v[116:117]
	v_add_f64_e32 v[66:67], v[222:223], v[72:73]
	;; [unrolled: 1-line block ×3, first 2 shown]
	global_wb scope:SCOPE_SE
	s_wait_dscnt 0x0
	s_barrier_signal -1
	s_barrier_wait -1
	global_inv scope:SCOPE_SE
	ds_load_2addr_b64 v[4:7], v177 offset1:108
	ds_load_2addr_b64 v[0:3], v184 offset0:88 offset1:196
	ds_load_2addr_b64 v[92:95], v191 offset0:136 offset1:244
	;; [unrolled: 1-line block ×9, first 2 shown]
	v_fma_f64 v[54:55], v[126:127], s[6:7], v[28:29]
	v_fma_f64 v[28:29], v[126:127], s[2:3], v[28:29]
	ds_load_2addr_b64 v[84:87], v190 offset0:48 offset1:156
	v_fma_f64 v[72:73], v[136:137], s[6:7], v[30:31]
	v_fma_f64 v[30:31], v[136:137], s[2:3], v[30:31]
	;; [unrolled: 1-line block ×4, first 2 shown]
	v_add_f64_e32 v[48:49], v[173:174], v[110:111]
	v_fma_f64 v[108:109], v[50:51], s[6:7], v[38:39]
	v_fma_f64 v[38:39], v[50:51], s[2:3], v[38:39]
	v_mul_lo_u16 v50, v140, 57
	ds_load_2addr_b64 v[16:19], v189 offset0:56 offset1:164
	ds_load_2addr_b64 v[20:23], v192 offset0:64 offset1:172
	;; [unrolled: 1-line block ×4, first 2 shown]
	global_wb scope:SCOPE_SE
	s_wait_dscnt 0x0
	s_barrier_signal -1
	s_barrier_wait -1
	global_inv scope:SCOPE_SE
	ds_store_2addr_b64 v230, v[60:61], v[134:135] offset1:3
	ds_store_b64 v230, v[32:33] offset:48
	ds_store_2addr_b64 v231, v[64:65], v[138:139] offset1:3
	ds_store_b64 v231, v[34:35] offset:48
	ds_store_2addr_b64 v63, v[130:131], v[143:144] offset1:3
	v_lshrrev_b16 v206, 9, v50
	v_mul_lo_u16 v32, v205, 57
	ds_store_b64 v63, v[44:45] offset:48
	ds_store_2addr_b64 v62, v[124:125], v[145:146] offset1:3
	ds_store_b64 v62, v[46:47] offset:48
	v_mul_lo_u16 v33, v206, 9
	v_lshrrev_b16 v207, 9, v32
	ds_store_2addr_b64 v57, v[132:133], v[147:148] offset1:3
	ds_store_b64 v57, v[24:25] offset:48
	ds_store_2addr_b64 v56, v[40:41], v[42:43] offset1:3
	ds_store_b64 v56, v[26:27] offset:48
	;; [unrolled: 2-line block ×3, first 2 shown]
	ds_store_2addr_b64 v233, v[66:67], v[72:73] offset1:3
	v_sub_nc_u16 v24, v176, v33
	v_mul_lo_u16 v25, v207, 9
	ds_store_b64 v233, v[30:31] offset:48
	ds_store_2addr_b64 v234, v[58:59], v[78:79] offset1:3
	ds_store_b64 v234, v[36:37] offset:48
	ds_store_2addr_b64 v235, v[48:49], v[108:109] offset1:3
	ds_store_b64 v235, v[38:39] offset:48
	v_and_b32_e32 v208, 0xff, v24
	v_sub_nc_u16 v24, v203, v25
	global_wb scope:SCOPE_SE
	s_wait_dscnt 0x0
	s_barrier_signal -1
	s_barrier_wait -1
	v_mul_u32_u24_e32 v25, 9, v208
	v_and_b32_e32 v209, 0xff, v24
	global_inv scope:SCOPE_SE
	v_lshlrev_b32_e32 v60, 4, v25
	v_mul_u32_u24_e32 v24, 9, v209
	global_load_b128 v[108:111], v60, s[4:5] offset:112
	v_lshlrev_b32_e32 v48, 4, v24
	s_clause 0x6
	global_load_b128 v[116:119], v48, s[4:5] offset:112
	global_load_b128 v[122:125], v60, s[4:5] offset:144
	;; [unrolled: 1-line block ×7, first 2 shown]
	v_mul_u32_u24_e32 v24, 0xe38f, v204
	s_delay_alu instid0(VALU_DEP_1) | instskip(NEXT) | instid1(VALU_DEP_1)
	v_lshrrev_b32_e32 v210, 19, v24
	v_mul_lo_u16 v24, v210, 9
	s_delay_alu instid0(VALU_DEP_1) | instskip(NEXT) | instid1(VALU_DEP_1)
	v_sub_nc_u16 v24, v202, v24
	v_and_b32_e32 v211, 0xffff, v24
	s_delay_alu instid0(VALU_DEP_1) | instskip(NEXT) | instid1(VALU_DEP_1)
	v_mul_u32_u24_e32 v24, 9, v211
	v_lshlrev_b32_e32 v61, 4, v24
	s_clause 0x12
	global_load_b128 v[148:151], v48, s[4:5] offset:96
	global_load_b128 v[156:159], v61, s[4:5] offset:96
	global_load_b128 v[160:163], v60, s[4:5] offset:128
	global_load_b128 v[164:167], v61, s[4:5] offset:112
	global_load_b128 v[168:171], v60, s[4:5] offset:160
	global_load_b128 v[172:175], v61, s[4:5] offset:144
	global_load_b128 v[212:215], v60, s[4:5] offset:192
	global_load_b128 v[24:27], v61, s[4:5] offset:176
	global_load_b128 v[28:31], v61, s[4:5] offset:208
	global_load_b128 v[216:219], v60, s[4:5] offset:224
	global_load_b128 v[56:59], v48, s[4:5] offset:128
	global_load_b128 v[40:43], v61, s[4:5] offset:128
	global_load_b128 v[36:39], v48, s[4:5] offset:160
	global_load_b128 v[32:35], v61, s[4:5] offset:160
	global_load_b128 v[44:47], v48, s[4:5] offset:192
	global_load_b128 v[52:55], v61, s[4:5] offset:192
	global_load_b128 v[48:51], v48, s[4:5] offset:224
	global_load_b128 v[64:67], v61, s[4:5] offset:224
	global_load_b128 v[60:63], v60, s[4:5] offset:96
	ds_load_2addr_b64 v[152:155], v191 offset0:136 offset1:244
	ds_load_2addr_b64 v[180:183], v186 offset0:16 offset1:124
	;; [unrolled: 1-line block ×5, first 2 shown]
	s_wait_loadcnt_dscnt 0x1a04
	v_mul_f64_e32 v[72:73], v[152:153], v[110:111]
	v_mul_f64_e32 v[78:79], v[92:93], v[110:111]
	s_wait_loadcnt 0x19
	v_mul_f64_e32 v[110:111], v[154:155], v[118:119]
	v_mul_f64_e32 v[118:119], v[94:95], v[118:119]
	s_wait_loadcnt_dscnt 0x1803
	v_mul_f64_e32 v[134:135], v[180:181], v[124:125]
	v_mul_f64_e32 v[124:125], v[88:89], v[124:125]
	s_wait_loadcnt 0x17
	v_mul_f64_e32 v[232:233], v[182:183], v[128:129]
	v_mul_f64_e32 v[234:235], v[90:91], v[128:129]
	s_wait_loadcnt_dscnt 0x1602
	v_mul_f64_e32 v[236:237], v[220:221], v[132:133]
	v_mul_f64_e32 v[238:239], v[74:75], v[132:133]
	v_fma_f64 v[112:113], v[92:93], v[108:109], -v[72:73]
	v_fma_f64 v[120:121], v[152:153], v[108:109], v[78:79]
	s_wait_loadcnt 0x14
	v_mul_f64_e32 v[78:79], v[222:223], v[138:139]
	v_mul_f64_e32 v[108:109], v[76:77], v[138:139]
	v_fma_f64 v[114:115], v[94:95], v[116:117], -v[110:111]
	ds_load_2addr_b64 v[92:95], v190 offset0:48 offset1:156
	v_fma_f64 v[116:117], v[154:155], v[116:117], v[118:119]
	s_wait_dscnt 0x2
	v_mul_f64_e32 v[110:111], v[224:225], v[142:143]
	v_mul_f64_e32 v[118:119], v[80:81], v[142:143]
	s_wait_loadcnt 0x13
	v_mul_f64_e32 v[152:153], v[226:227], v[146:147]
	v_fma_f64 v[132:133], v[88:89], v[122:123], -v[134:135]
	v_fma_f64 v[128:129], v[180:181], v[122:123], v[124:125]
	v_mul_f64_e32 v[88:89], v[82:83], v[146:147]
	v_fma_f64 v[134:135], v[90:91], v[126:127], -v[232:233]
	s_wait_loadcnt 0x12
	v_mul_f64_e32 v[146:147], v[84:85], v[150:151]
	v_fma_f64 v[124:125], v[182:183], v[126:127], v[234:235]
	ds_load_2addr_b64 v[180:183], v194 offset0:104 offset1:212
	v_fma_f64 v[138:139], v[74:75], v[130:131], -v[236:237]
	ds_load_2addr_b64 v[72:75], v187 offset0:112 offset1:220
	v_fma_f64 v[126:127], v[220:221], v[130:131], v[238:239]
	s_wait_loadcnt_dscnt 0x1003
	v_mul_f64_e32 v[220:221], v[230:231], v[162:163]
	v_mul_f64_e32 v[162:163], v[70:71], v[162:163]
	s_wait_dscnt 0x2
	v_mul_f64_e32 v[90:91], v[92:93], v[150:151]
	v_mul_f64_e32 v[150:151], v[94:95], v[158:159]
	;; [unrolled: 1-line block ×3, first 2 shown]
	s_wait_loadcnt_dscnt 0xb00
	v_mul_f64_e32 v[232:233], v[72:73], v[26:27]
	v_fma_f64 v[142:143], v[76:77], v[136:137], -v[78:79]
	v_fma_f64 v[130:131], v[222:223], v[136:137], v[108:109]
	v_mul_f64_e32 v[136:137], v[228:229], v[166:167]
	v_mul_f64_e32 v[166:167], v[68:69], v[166:167]
	;; [unrolled: 1-line block ×3, first 2 shown]
	v_fma_f64 v[122:123], v[80:81], v[140:141], -v[110:111]
	v_fma_f64 v[110:111], v[224:225], v[140:141], v[118:119]
	v_mul_f64_e32 v[170:171], v[106:107], v[170:171]
	v_mul_f64_e32 v[224:225], v[180:181], v[174:175]
	;; [unrolled: 1-line block ×3, first 2 shown]
	ds_load_2addr_b64 v[76:79], v185 offset0:120 offset1:228
	v_fma_f64 v[118:119], v[82:83], v[144:145], -v[152:153]
	v_fma_f64 v[108:109], v[226:227], v[144:145], v[88:89]
	ds_load_2addr_b64 v[80:83], v189 offset0:56 offset1:164
	v_fma_f64 v[144:145], v[92:93], v[148:149], v[146:147]
	v_mul_f64_e32 v[226:227], v[74:75], v[214:215]
	v_mul_f64_e32 v[214:215], v[102:103], v[214:215]
	v_fma_f64 v[146:147], v[70:71], v[160:161], -v[220:221]
	v_fma_f64 v[154:155], v[84:85], v[148:149], -v[90:91]
	;; [unrolled: 1-line block ×3, first 2 shown]
	v_fma_f64 v[150:151], v[94:95], v[156:157], v[158:159]
	ds_load_2addr_b64 v[88:91], v192 offset0:64 offset1:172
	ds_load_2addr_b64 v[84:87], v188 offset0:72 offset1:180
	;; [unrolled: 1-line block ×3, first 2 shown]
	v_fma_f64 v[148:149], v[230:231], v[160:161], v[162:163]
	s_wait_loadcnt_dscnt 0xa04
	v_mul_f64_e32 v[234:235], v[76:77], v[30:31]
	s_wait_loadcnt 0x9
	v_mul_f64_e32 v[236:237], v[78:79], v[218:219]
	v_mul_f64_e32 v[218:219], v[98:99], v[218:219]
	s_wait_loadcnt_dscnt 0x803
	v_mul_f64_e32 v[162:163], v[80:81], v[58:59]
	s_wait_loadcnt 0x7
	v_mul_f64_e32 v[158:159], v[82:83], v[42:43]
	v_mul_f64_e32 v[160:161], v[18:19], v[42:43]
	v_fma_f64 v[136:137], v[68:69], v[164:165], -v[136:137]
	v_fma_f64 v[140:141], v[228:229], v[164:165], v[166:167]
	v_mul_f64_e32 v[164:165], v[16:17], v[58:59]
	v_fma_f64 v[156:157], v[106:107], v[168:169], -v[222:223]
	ds_load_2addr_b64 v[68:71], v184 offset0:88 offset1:196
	v_fma_f64 v[106:107], v[182:183], v[168:169], v[170:171]
	v_mul_f64_e32 v[170:171], v[100:101], v[26:27]
	s_wait_loadcnt_dscnt 0x603
	v_mul_f64_e32 v[166:167], v[88:89], v[38:39]
	v_fma_f64 v[58:59], v[104:105], v[172:173], -v[224:225]
	v_mul_f64_e32 v[104:105], v[20:21], v[38:39]
	v_fma_f64 v[38:39], v[180:181], v[172:173], v[174:175]
	v_mul_f64_e32 v[182:183], v[96:97], v[30:31]
	s_wait_loadcnt_dscnt 0x402
	v_mul_f64_e32 v[174:175], v[84:85], v[46:47]
	v_mul_f64_e32 v[180:181], v[12:13], v[46:47]
	v_fma_f64 v[46:47], v[100:101], v[24:25], -v[232:233]
	s_wait_loadcnt_dscnt 0x201
	v_mul_f64_e32 v[100:101], v[92:93], v[50:51]
	v_mul_f64_e32 v[50:51], v[8:9], v[50:51]
	v_fma_f64 v[42:43], v[74:75], v[212:213], v[214:215]
	v_mul_f64_e32 v[74:75], v[86:87], v[54:55]
	v_mul_f64_e32 v[54:55], v[14:15], v[54:55]
	;; [unrolled: 1-line block ×4, first 2 shown]
	v_fma_f64 v[102:103], v[102:103], v[212:213], -v[226:227]
	v_add_f64_e64 v[223:224], v[134:135], -v[114:115]
	v_add_f64_e64 v[225:226], v[142:143], -v[118:119]
	v_fma_f64 v[30:31], v[96:97], v[28:29], -v[234:235]
	s_wait_loadcnt 0x1
	v_mul_f64_e32 v[96:97], v[94:95], v[66:67]
	v_mul_f64_e32 v[66:67], v[10:11], v[66:67]
	v_fma_f64 v[26:27], v[78:79], v[216:217], v[218:219]
	s_wait_loadcnt_dscnt 0x0
	v_mul_f64_e32 v[78:79], v[70:71], v[62:63]
	v_mul_f64_e32 v[62:63], v[2:3], v[62:63]
	v_fma_f64 v[34:35], v[98:99], v[216:217], -v[236:237]
	v_fma_f64 v[16:17], v[16:17], v[56:57], -v[162:163]
	;; [unrolled: 1-line block ×3, first 2 shown]
	v_fma_f64 v[40:41], v[82:83], v[40:41], v[160:161]
	v_add_f64_e64 v[82:83], v[112:113], -v[132:133]
	v_add_f64_e64 v[162:163], v[138:139], -v[122:123]
	v_fma_f64 v[56:57], v[80:81], v[56:57], v[164:165]
	v_add_f64_e32 v[80:81], v[116:117], v[108:109]
	v_and_b32_e32 v98, 0xffff, v206
	v_add_f64_e64 v[164:165], v[106:107], -v[148:149]
	v_fma_f64 v[24:25], v[72:73], v[24:25], v[170:171]
	v_fma_f64 v[20:21], v[20:21], v[36:37], -v[166:167]
	v_add_f64_e64 v[170:171], v[114:115], -v[134:135]
	v_fma_f64 v[36:37], v[88:89], v[36:37], v[104:105]
	v_add_f64_e64 v[104:105], v[132:133], -v[112:113]
	v_fma_f64 v[28:29], v[76:77], v[28:29], v[182:183]
	v_fma_f64 v[12:13], v[12:13], v[44:45], -v[174:175]
	v_fma_f64 v[44:45], v[84:85], v[44:45], v[180:181]
	v_add_f64_e32 v[76:77], v[120:121], v[110:111]
	v_fma_f64 v[8:9], v[8:9], v[48:49], -v[100:101]
	v_fma_f64 v[48:49], v[92:93], v[48:49], v[50:51]
	v_add_f64_e64 v[84:85], v[122:123], -v[138:139]
	v_fma_f64 v[14:15], v[14:15], v[52:53], -v[74:75]
	v_fma_f64 v[52:53], v[86:87], v[52:53], v[54:55]
	v_fma_f64 v[22:23], v[22:23], v[32:33], -v[168:169]
	v_fma_f64 v[32:33], v[90:91], v[32:33], v[172:173]
	v_add_f64_e32 v[74:75], v[128:129], v[126:127]
	v_add_f64_e64 v[86:87], v[146:147], -v[156:157]
	v_add_f64_e64 v[90:91], v[148:149], -v[106:107]
	;; [unrolled: 1-line block ×3, first 2 shown]
	v_and_b32_e32 v99, 0xffff, v207
	v_mul_u32_u24_e32 v98, 0x2d0, v98
	v_add_f64_e32 v[72:73], v[136:137], v[30:31]
	v_fma_f64 v[10:11], v[10:11], v[64:65], -v[96:97]
	v_fma_f64 v[50:51], v[94:95], v[64:65], v[66:67]
	v_add_f64_e32 v[64:65], v[134:135], v[142:143]
	v_fma_f64 v[2:3], v[2:3], v[60:61], -v[78:79]
	v_fma_f64 v[54:55], v[70:71], v[60:61], v[62:63]
	v_add_f64_e32 v[60:61], v[132:133], v[138:139]
	v_add_f64_e32 v[62:63], v[112:113], v[122:123]
	;; [unrolled: 1-line block ×5, first 2 shown]
	v_add_f64_e64 v[88:89], v[34:35], -v[102:103]
	v_add_f64_e64 v[92:93], v[26:27], -v[42:43]
	;; [unrolled: 1-line block ×5, first 2 shown]
	v_add_f64_e32 v[158:159], v[38:39], v[24:25]
	v_add_f64_e64 v[213:214], v[16:17], -v[20:21]
	v_add_f64_e64 v[221:222], v[20:21], -v[16:17]
	;; [unrolled: 1-line block ×4, first 2 shown]
	v_add_f64_e32 v[160:161], v[140:141], v[28:29]
	v_mul_u32_u24_e32 v207, 0x2d0, v210
	v_mul_u32_u24_e32 v99, 0x2d0, v99
	v_lshlrev_b32_e32 v206, 3, v208
	v_add_f64_e64 v[215:216], v[8:9], -v[12:13]
	v_add_f64_e64 v[219:220], v[48:49], -v[44:45]
	;; [unrolled: 1-line block ×4, first 2 shown]
	v_lshlrev_b32_e32 v208, 3, v209
	v_lshlrev_b32_e32 v209, 3, v211
	v_add3_u32 v206, 0, v98, v206
	v_add_f64_e32 v[94:95], v[4:5], v[112:113]
	v_add_f64_e32 v[168:169], v[6:7], v[114:115]
	v_add3_u32 v99, 0, v99, v208
	v_add3_u32 v98, 0, v207, v209
	ds_load_2addr_b64 v[207:210], v177 offset1:108
	v_add_f64_e32 v[172:173], v[0:1], v[136:137]
	v_add_f64_e32 v[211:212], v[68:69], v[140:141]
	v_add_f64_e64 v[233:234], v[10:11], -v[14:15]
	v_add_f64_e64 v[235:236], v[46:47], -v[30:31]
	v_add_f64_e32 v[82:83], v[82:83], v[84:85]
	v_add_f64_e64 v[84:85], v[22:23], -v[18:19]
	v_add_f64_e32 v[104:105], v[104:105], v[162:163]
	v_fma_f64 v[60:61], v[60:61], -0.5, v[4:5]
	v_fma_f64 v[4:5], v[62:63], -0.5, v[4:5]
	;; [unrolled: 1-line block ×4, first 2 shown]
	v_add_f64_e64 v[64:65], v[136:137], -v[58:59]
	v_add_f64_e64 v[66:67], v[30:31], -v[46:47]
	v_fma_f64 v[70:71], v[70:71], -0.5, v[0:1]
	v_fma_f64 v[0:1], v[72:73], -0.5, v[0:1]
	v_add_f64_e64 v[72:73], v[18:19], -v[22:23]
	v_add_f64_e32 v[86:87], v[86:87], v[88:89]
	v_fma_f64 v[158:159], v[158:159], -0.5, v[68:69]
	v_add_f64_e64 v[88:89], v[14:15], -v[10:11]
	s_wait_dscnt 0x0
	v_add_f64_e32 v[174:175], v[207:208], v[120:121]
	v_add_f64_e32 v[180:181], v[209:210], v[116:117]
	v_fma_f64 v[74:75], v[74:75], -0.5, v[207:208]
	v_fma_f64 v[76:77], v[76:77], -0.5, v[207:208]
	;; [unrolled: 1-line block ×4, first 2 shown]
	v_add_f64_e64 v[207:208], v[40:41], -v[32:33]
	v_add_f64_e64 v[209:210], v[50:51], -v[52:53]
	v_fma_f64 v[68:69], v[160:161], -0.5, v[68:69]
	v_add_f64_e64 v[160:161], v[58:59], -v[136:137]
	v_add_f64_e32 v[90:91], v[90:91], v[92:93]
	v_add_f64_e64 v[92:93], v[32:33], -v[40:41]
	v_add_f64_e64 v[162:163], v[52:53], -v[50:51]
	v_add_f64_e32 v[96:97], v[96:97], v[100:101]
	v_add_f64_e64 v[100:101], v[120:121], -v[128:129]
	v_add_f64_e32 v[164:165], v[164:165], v[166:167]
	;; [unrolled: 2-line block ×9, first 2 shown]
	v_add_f64_e32 v[168:169], v[168:169], v[134:135]
	v_add_f64_e32 v[64:65], v[64:65], v[66:67]
	v_add_f64_e32 v[66:67], v[2:3], v[146:147]
	v_add_f64_e64 v[132:133], v[132:133], -v[138:139]
	v_add_f64_e32 v[72:73], v[72:73], v[233:234]
	v_add_f64_e64 v[233:234], v[140:141], -v[38:39]
	v_add_f64_e64 v[134:135], v[134:135], -v[142:143]
	v_add_f64_e32 v[84:85], v[84:85], v[88:89]
	v_add_f64_e64 v[88:89], v[38:39], -v[140:141]
	v_add_f64_e32 v[172:173], v[172:173], v[58:59]
	v_add_f64_e32 v[174:175], v[174:175], v[128:129]
	v_add_f64_e64 v[128:129], v[128:129], -v[126:127]
	v_add_f64_e32 v[180:181], v[180:181], v[124:125]
	v_add_f64_e64 v[120:121], v[120:121], -v[110:111]
	v_add_f64_e64 v[58:59], v[58:59], -v[46:47]
	v_add_f64_e32 v[207:208], v[207:208], v[209:210]
	v_add_f64_e32 v[209:210], v[154:155], v[16:17]
	;; [unrolled: 1-line block ×3, first 2 shown]
	v_add_f64_e64 v[235:236], v[28:29], -v[24:25]
	v_add_f64_e32 v[211:212], v[211:212], v[38:39]
	v_add_f64_e32 v[92:93], v[92:93], v[162:163]
	v_add_f64_e64 v[162:163], v[24:25], -v[28:29]
	v_add_f64_e64 v[124:125], v[124:125], -v[130:131]
	;; [unrolled: 1-line block ×3, first 2 shown]
	v_add_f64_e32 v[100:101], v[100:101], v[166:167]
	v_add_f64_e32 v[166:167], v[156:157], v[102:103]
	v_add_f64_e64 v[140:141], v[140:141], -v[28:29]
	v_add_f64_e64 v[116:117], v[116:117], -v[108:109]
	v_add_f64_e32 v[182:183], v[182:183], v[215:216]
	v_add_f64_e32 v[215:216], v[146:147], v[34:35]
	v_add_f64_e64 v[146:147], v[146:147], -v[34:35]
	v_add_f64_e64 v[38:39], v[38:39], -v[24:25]
	;; [unrolled: 4-line block ×3, first 2 shown]
	v_add_f64_e32 v[227:228], v[227:228], v[231:232]
	v_add_f64_e32 v[231:232], v[16:17], v[8:9]
	;; [unrolled: 1-line block ×5, first 2 shown]
	v_add_f64_e64 v[156:157], v[156:157], -v[102:103]
	v_add_f64_e32 v[142:143], v[168:169], v[142:143]
	v_add_f64_e32 v[168:169], v[32:33], v[52:53]
	v_add_f64_e64 v[16:17], v[16:17], -v[8:9]
	global_wb scope:SCOPE_SE
	s_barrier_signal -1
	v_add_f64_e32 v[46:47], v[172:173], v[46:47]
	v_add_f64_e32 v[126:127], v[174:175], v[126:127]
	v_fma_f64 v[172:173], v[128:129], s[0:1], v[4:5]
	v_fma_f64 v[4:5], v[128:129], s[16:17], v[4:5]
	v_add_f64_e32 v[130:131], v[180:181], v[130:131]
	v_fma_f64 v[180:181], v[120:121], s[16:17], v[60:61]
	v_fma_f64 v[60:61], v[120:121], s[0:1], v[60:61]
	v_add_f64_e32 v[209:210], v[209:210], v[20:21]
	v_add_f64_e64 v[20:21], v[20:21], -v[12:13]
	v_add_f64_e32 v[233:234], v[233:234], v[235:236]
	v_add_f64_e32 v[235:236], v[22:23], v[14:15]
	;; [unrolled: 1-line block ×5, first 2 shown]
	s_barrier_wait -1
	global_inv scope:SCOPE_SE
	v_fma_f64 v[166:167], v[166:167], -0.5, v[2:3]
	v_fma_f64 v[2:3], v[215:216], -0.5, v[2:3]
	v_add_f64_e32 v[215:216], v[106:107], v[42:43]
	v_fma_f64 v[225:226], v[225:226], -0.5, v[154:155]
	v_fma_f64 v[154:155], v[231:232], -0.5, v[154:155]
	v_add_f64_e32 v[231:232], v[148:149], v[26:27]
	v_fma_f64 v[138:139], v[138:139], -0.5, v[144:145]
	v_add_f64_e32 v[66:67], v[66:67], v[102:103]
	v_add_f64_e32 v[102:103], v[56:57], v[48:49]
	;; [unrolled: 1-line block ×3, first 2 shown]
	v_fma_f64 v[168:169], v[168:169], -0.5, v[150:151]
	v_add_f64_e32 v[118:119], v[142:143], v[118:119]
	v_fma_f64 v[142:143], v[38:39], s[0:1], v[0:1]
	v_fma_f64 v[0:1], v[38:39], s[16:17], v[0:1]
	v_add_f64_e32 v[30:31], v[46:47], v[30:31]
	v_fma_f64 v[172:173], v[120:121], s[18:19], v[172:173]
	v_fma_f64 v[4:5], v[120:121], s[10:11], v[4:5]
	;; [unrolled: 3-line block ×3, first 2 shown]
	v_add_f64_e32 v[12:13], v[209:210], v[12:13]
	v_add_f64_e32 v[209:210], v[40:41], v[50:51]
	v_fma_f64 v[235:236], v[235:236], -0.5, v[152:153]
	v_add_f64_e32 v[24:25], v[24:25], v[28:29]
	v_fma_f64 v[162:163], v[162:163], -0.5, v[152:153]
	v_add_f64_e32 v[152:153], v[152:153], v[18:19]
	v_add_f64_e64 v[18:19], v[18:19], -v[10:11]
	v_fma_f64 v[215:216], v[215:216], -0.5, v[54:55]
	v_fma_f64 v[231:232], v[231:232], -0.5, v[54:55]
	v_add_f64_e32 v[54:55], v[54:55], v[148:149]
	v_add_f64_e64 v[148:149], v[148:149], -v[26:27]
	v_fma_f64 v[102:103], v[102:103], -0.5, v[144:145]
	v_add_f64_e32 v[144:145], v[144:145], v[56:57]
	v_add_f64_e64 v[56:57], v[56:57], -v[48:49]
	v_add_f64_e32 v[34:35], v[66:67], v[34:35]
	v_fma_f64 v[120:121], v[16:17], s[0:1], v[138:139]
	v_fma_f64 v[138:139], v[16:17], s[16:17], v[138:139]
	;; [unrolled: 1-line block ×5, first 2 shown]
	v_add_f64_e32 v[8:9], v[12:13], v[8:9]
	v_fma_f64 v[209:210], v[209:210], -0.5, v[150:151]
	v_add_f64_e32 v[150:151], v[150:151], v[40:41]
	v_add_f64_e64 v[40:41], v[40:41], -v[50:51]
	v_fma_f64 v[12:13], v[140:141], s[16:17], v[70:71]
	v_fma_f64 v[70:71], v[140:141], s[0:1], v[70:71]
	v_add_f64_e32 v[152:153], v[152:153], v[22:23]
	v_add_f64_e64 v[22:23], v[22:23], -v[14:15]
	v_add_f64_e32 v[54:55], v[54:55], v[106:107]
	v_add_f64_e64 v[106:107], v[106:107], -v[42:43]
	v_fma_f64 v[174:175], v[148:149], s[16:17], v[166:167]
	v_add_f64_e32 v[144:145], v[144:145], v[36:37]
	v_add_f64_e64 v[36:37], v[36:37], -v[44:45]
	v_fma_f64 v[166:167], v[148:149], s[0:1], v[166:167]
	v_fma_f64 v[122:123], v[56:57], s[16:17], v[225:226]
	;; [unrolled: 1-line block ×10, first 2 shown]
	v_add_f64_e32 v[150:151], v[150:151], v[32:33]
	v_add_f64_e64 v[32:33], v[32:33], -v[52:53]
	v_fma_f64 v[128:129], v[40:41], s[0:1], v[235:236]
	v_fma_f64 v[235:236], v[40:41], s[16:17], v[235:236]
	;; [unrolled: 1-line block ×3, first 2 shown]
	v_add_f64_e32 v[14:15], v[152:153], v[14:15]
	v_fma_f64 v[38:39], v[38:39], s[10:11], v[70:71]
	v_add_f64_e32 v[42:43], v[54:55], v[42:43]
	v_fma_f64 v[152:153], v[106:107], s[0:1], v[2:3]
	v_fma_f64 v[2:3], v[106:107], s[16:17], v[2:3]
	;; [unrolled: 1-line block ×4, first 2 shown]
	v_add_f64_e32 v[44:45], v[144:145], v[44:45]
	v_fma_f64 v[144:145], v[146:147], s[0:1], v[215:216]
	v_fma_f64 v[215:216], v[146:147], s[16:17], v[215:216]
	;; [unrolled: 1-line block ×11, first 2 shown]
	v_add_f64_e32 v[52:53], v[150:151], v[52:53]
	v_fma_f64 v[150:151], v[124:125], s[0:1], v[6:7]
	v_fma_f64 v[6:7], v[124:125], s[16:17], v[6:7]
	;; [unrolled: 1-line block ×11, first 2 shown]
	v_add_f64_e32 v[10:11], v[14:15], v[10:11]
	v_fma_f64 v[14:15], v[140:141], s[18:19], v[142:143]
	v_fma_f64 v[12:13], v[64:65], s[12:13], v[12:13]
	;; [unrolled: 1-line block ×3, first 2 shown]
	v_add_f64_e32 v[26:27], v[42:43], v[26:27]
	v_fma_f64 v[152:153], v[148:149], s[18:19], v[152:153]
	v_fma_f64 v[2:3], v[148:149], s[10:11], v[2:3]
	;; [unrolled: 1-line block ×25, first 2 shown]
	v_add_f64_e32 v[42:43], v[126:127], v[110:111]
	v_fma_f64 v[22:23], v[22:23], s[18:19], v[168:169]
	v_fma_f64 v[128:129], v[72:73], s[12:13], v[128:129]
	;; [unrolled: 1-line block ×3, first 2 shown]
	v_add_f64_e32 v[44:45], v[44:45], v[48:49]
	v_fma_f64 v[36:37], v[213:214], s[12:13], v[36:37]
	v_fma_f64 v[16:17], v[229:230], s[12:13], v[16:17]
	;; [unrolled: 1-line block ×5, first 2 shown]
	v_add_f64_e32 v[50:51], v[52:53], v[50:51]
	v_fma_f64 v[52:53], v[82:83], s[12:13], v[180:181]
	v_fma_f64 v[14:15], v[160:161], s[12:13], v[14:15]
	;; [unrolled: 1-line block ×19, first 2 shown]
	v_mul_f64_e32 v[72:73], s[18:19], v[70:71]
	s_wait_alu 0xfffe
	v_mul_f64_e32 v[144:145], s[14:15], v[102:103]
	v_fma_f64 v[110:111], v[112:113], s[10:11], v[116:117]
	v_fma_f64 v[116:117], v[207:208], s[12:13], v[166:167]
	;; [unrolled: 1-line block ×6, first 2 shown]
	v_mul_f64_e32 v[140:141], s[16:17], v[66:67]
	v_fma_f64 v[22:23], v[207:208], s[12:13], v[22:23]
	v_mul_f64_e32 v[152:153], s[14:15], v[128:129]
	v_fma_f64 v[154:155], v[104:105], s[12:13], v[172:173]
	v_fma_f64 v[104:105], v[223:224], s[12:13], v[150:151]
	v_mul_f64_e32 v[162:163], s[10:11], v[36:37]
	v_mul_f64_e32 v[166:167], s[12:13], v[16:17]
	v_fma_f64 v[6:7], v[223:224], s[12:13], v[6:7]
	v_fma_f64 v[122:123], v[227:228], s[12:13], v[122:123]
	;; [unrolled: 1-line block ×5, first 2 shown]
	v_mov_b32_e32 v181, 0
	v_mul_f64_e32 v[150:151], s[0:1], v[48:49]
	v_fma_f64 v[126:127], v[84:85], s[12:13], v[148:149]
	v_mul_f64_e32 v[134:135], s[16:17], v[54:55]
	v_mul_f64_e32 v[156:157], s[12:13], v[86:87]
	v_fma_f64 v[120:121], v[92:93], s[12:13], v[231:232]
	v_mul_f64_e32 v[130:131], s[18:19], v[46:47]
	v_fma_f64 v[82:83], v[170:171], s[12:13], v[215:216]
	v_fma_f64 v[62:63], v[170:171], s[12:13], v[62:63]
	v_fma_f64 v[114:115], v[58:59], s[10:11], v[124:125]
	v_fma_f64 v[124:125], v[136:137], s[10:11], v[138:139]
	v_mul_f64_e32 v[136:137], s[12:13], v[2:3]
	v_mul_f64_e32 v[138:139], s[14:15], v[106:107]
	;; [unrolled: 1-line block ×3, first 2 shown]
	v_fma_f64 v[18:19], v[92:93], s[12:13], v[18:19]
	v_fma_f64 v[40:41], v[84:85], s[12:13], v[40:41]
	v_add_f64_e32 v[84:85], v[94:95], v[34:35]
	v_add_f64_e64 v[34:35], v[94:95], -v[34:35]
	v_add_f64_e32 v[94:95], v[118:119], v[8:9]
	v_mul_f64_e32 v[92:93], s[18:19], v[116:117]
	v_add_f64_e64 v[8:9], v[118:119], -v[8:9]
	v_mul_f64_e32 v[118:119], s[10:11], v[28:29]
	v_fma_f64 v[58:59], v[58:59], s[18:19], v[158:159]
	v_mul_f64_e32 v[158:159], s[14:15], v[90:91]
	v_mul_f64_e32 v[164:165], s[0:1], v[96:97]
	v_fma_f64 v[36:37], v[36:37], s[14:15], v[72:73]
	v_fma_f64 v[72:73], v[20:21], s[18:19], -v[144:145]
	v_mul_f64_e32 v[20:21], s[14:15], v[20:21]
	v_fma_f64 v[64:65], v[96:97], s[12:13], v[140:141]
	v_fma_f64 v[110:111], v[182:183], s[12:13], v[110:111]
	;; [unrolled: 1-line block ×5, first 2 shown]
	v_add_f64_e32 v[96:97], v[42:43], v[26:27]
	v_fma_f64 v[54:55], v[54:55], s[12:13], v[150:151]
	v_mul_f64_e32 v[148:149], s[12:13], v[126:127]
	v_fma_f64 v[48:49], v[48:49], s[12:13], v[134:135]
	v_fma_f64 v[2:3], v[2:3], s[0:1], -v[156:157]
	v_mul_f64_e32 v[146:147], s[16:17], v[120:121]
	v_fma_f64 v[28:29], v[28:29], s[14:15], v[130:131]
	v_add_f64_e32 v[130:131], v[30:31], v[10:11]
	v_add_f64_e64 v[10:11], v[30:31], -v[10:11]
	v_fma_f64 v[30:31], v[100:101], s[12:13], v[112:113]
	v_fma_f64 v[100:101], v[219:220], s[12:13], v[132:133]
	v_fma_f64 v[86:87], v[86:87], s[16:17], -v[136:137]
	v_fma_f64 v[90:91], v[90:91], s[18:19], -v[138:139]
	;; [unrolled: 1-line block ×4, first 2 shown]
	v_mul_f64_e32 v[22:23], s[14:15], v[22:23]
	v_fma_f64 v[92:93], v[32:33], s[14:15], v[92:93]
	v_mul_f64_e32 v[32:33], s[10:11], v[32:33]
	v_fma_f64 v[46:47], v[46:47], s[14:15], v[118:119]
	v_fma_f64 v[118:119], v[56:57], s[0:1], -v[166:167]
	v_fma_f64 v[106:107], v[106:107], s[10:11], -v[158:159]
	v_fma_f64 v[66:67], v[66:67], s[12:13], v[164:165]
	v_add_f64_e32 v[142:143], v[62:63], v[72:73]
	v_fma_f64 v[20:21], v[102:103], s[10:11], -v[20:21]
	v_fma_f64 v[134:135], v[18:19], s[16:17], -v[148:149]
	v_mul_f64_e32 v[18:19], s[12:13], v[18:19]
	v_add_f64_e32 v[132:133], v[154:155], v[48:49]
	v_fma_f64 v[112:113], v[40:41], s[12:13], v[146:147]
	v_mul_f64_e32 v[40:41], s[0:1], v[40:41]
	v_add_f64_e32 v[56:57], v[52:53], v[28:29]
	v_add_f64_e64 v[28:29], v[52:53], -v[28:29]
	v_add_f64_e64 v[48:49], v[154:155], -v[48:49]
	v_add_f64_e32 v[138:139], v[4:5], v[86:87]
	v_add_f64_e32 v[140:141], v[60:61], v[90:91]
	v_add_f64_e64 v[4:5], v[4:5], -v[86:87]
	v_add_f64_e64 v[52:53], v[60:61], -v[90:91]
	v_add_f64_e32 v[60:61], v[82:83], v[36:37]
	v_add_f64_e32 v[86:87], v[104:105], v[64:65]
	;; [unrolled: 1-line block ×3, first 2 shown]
	v_add_f64_e64 v[36:37], v[82:83], -v[36:37]
	v_add_f64_e64 v[64:65], v[104:105], -v[64:65]
	;; [unrolled: 1-line block ×4, first 2 shown]
	v_add_f64_e32 v[62:63], v[12:13], v[92:93]
	v_add_f64_e32 v[104:105], v[38:39], v[136:137]
	v_add_f64_e64 v[12:13], v[12:13], -v[92:93]
	v_add_f64_e64 v[38:39], v[38:39], -v[136:137]
	v_fma_f64 v[92:93], v[233:234], s[12:13], v[114:115]
	v_fma_f64 v[114:115], v[88:89], s[12:13], v[124:125]
	v_add_f64_e64 v[88:89], v[42:43], -v[26:27]
	v_fma_f64 v[26:27], v[116:117], s[14:15], v[32:33]
	v_fma_f64 v[22:23], v[128:129], s[10:11], -v[22:23]
	v_add_f64_e32 v[102:103], v[30:31], v[46:47]
	v_add_f64_e32 v[116:117], v[110:111], v[54:55]
	;; [unrolled: 1-line block ×3, first 2 shown]
	v_add_f64_e64 v[110:111], v[110:111], -v[54:55]
	v_add_f64_e64 v[74:75], v[74:75], -v[106:107]
	v_add_f64_e32 v[124:125], v[108:109], v[44:45]
	v_add_f64_e32 v[106:107], v[100:101], v[70:71]
	;; [unrolled: 1-line block ×4, first 2 shown]
	v_add_f64_e64 v[0:1], v[0:1], -v[134:135]
	v_add_f64_e32 v[134:135], v[122:123], v[66:67]
	v_add_f64_e32 v[72:73], v[14:15], v[112:113]
	v_add_f64_e64 v[14:15], v[14:15], -v[112:113]
	v_fma_f64 v[32:33], v[120:121], s[12:13], v[40:41]
	v_fma_f64 v[112:113], v[233:234], s[12:13], v[58:59]
	v_fma_f64 v[40:41], v[126:127], s[0:1], -v[18:19]
	v_add_f64_e32 v[120:121], v[76:77], v[2:3]
	v_add_f64_e64 v[126:127], v[30:31], -v[46:47]
	v_add_f64_e64 v[76:77], v[76:77], -v[2:3]
	;; [unrolled: 1-line block ×3, first 2 shown]
	ds_store_2addr_b64 v206, v[84:85], v[56:57] offset1:9
	ds_store_2addr_b64 v206, v[132:133], v[138:139] offset0:18 offset1:27
	ds_store_2addr_b64 v206, v[140:141], v[34:35] offset0:36 offset1:45
	ds_store_2addr_b64 v206, v[28:29], v[48:49] offset0:54 offset1:63
	ds_store_2addr_b64 v206, v[4:5], v[52:53] offset0:72 offset1:81
	ds_store_2addr_b64 v99, v[94:95], v[60:61] offset1:9
	ds_store_2addr_b64 v99, v[86:87], v[90:91] offset0:18 offset1:27
	ds_store_2addr_b64 v99, v[142:143], v[8:9] offset0:36 offset1:45
	ds_store_2addr_b64 v99, v[36:37], v[64:65] offset0:54 offset1:63
	ds_store_2addr_b64 v99, v[6:7], v[16:17] offset0:72 offset1:81
	;; [unrolled: 5-line block ×3, first 2 shown]
	v_add_f64_e32 v[64:65], v[78:79], v[20:21]
	v_add_f64_e64 v[60:61], v[100:101], -v[70:71]
	v_add_f64_e64 v[62:63], v[122:123], -v[66:67]
	;; [unrolled: 1-line block ×4, first 2 shown]
	v_add_f64_e32 v[72:73], v[24:25], v[50:51]
	v_add_f64_e32 v[80:81], v[92:93], v[26:27]
	v_add_f64_e64 v[90:91], v[92:93], -v[26:27]
	global_wb scope:SCOPE_SE
	s_wait_dscnt 0x0
	s_barrier_signal -1
	s_barrier_wait -1
	global_inv scope:SCOPE_SE
	v_add_f64_e64 v[92:93], v[114:115], -v[32:33]
	v_add_f64_e32 v[82:83], v[114:115], v[32:33]
	v_add_f64_e32 v[84:85], v[68:69], v[40:41]
	v_add_f64_e64 v[68:69], v[68:69], -v[40:41]
	v_add_f64_e64 v[94:95], v[112:113], -v[22:23]
	ds_load_2addr_b64 v[4:7], v177 offset1:108
	ds_load_2addr_b64 v[0:3], v190 offset0:48 offset1:156
	ds_load_2addr_b64 v[56:59], v189 offset0:56 offset1:164
	;; [unrolled: 1-line block ×6, first 2 shown]
	v_add_f64_e64 v[78:79], v[24:25], -v[50:51]
	v_add_f64_e32 v[86:87], v[112:113], v[22:23]
	ds_load_2addr_b64 v[48:51], v192 offset0:64 offset1:172
	ds_load_2addr_b64 v[40:43], v185 offset0:120 offset1:228
	;; [unrolled: 1-line block ×8, first 2 shown]
	global_wb scope:SCOPE_SE
	s_wait_dscnt 0x0
	s_barrier_signal -1
	s_barrier_wait -1
	global_inv scope:SCOPE_SE
	ds_store_2addr_b64 v206, v[96:97], v[102:103] offset1:9
	v_mul_lo_u16 v96, 0xb7, v205
	ds_store_2addr_b64 v206, v[116:117], v[120:121] offset0:18 offset1:27
	ds_store_2addr_b64 v206, v[128:129], v[88:89] offset0:36 offset1:45
	;; [unrolled: 1-line block ×3, first 2 shown]
	v_add_nc_u32_e32 v88, 0xffffffa6, v176
	v_cmp_gt_u32_e64 s0, 0x5a, v176
	ds_store_2addr_b64 v206, v[76:77], v[74:75] offset0:72 offset1:81
	ds_store_2addr_b64 v99, v[124:125], v[106:107] offset1:9
	ds_store_2addr_b64 v99, v[134:135], v[136:137] offset0:18 offset1:27
	v_lshrrev_b16 v183, 14, v96
	ds_store_2addr_b64 v99, v[64:65], v[108:109] offset0:36 offset1:45
	ds_store_2addr_b64 v99, v[60:61], v[62:63] offset0:54 offset1:63
	;; [unrolled: 1-line block ×3, first 2 shown]
	s_wait_alu 0xf1ff
	v_cndmask_b32_e64 v205, v88, v176, s0
	v_mul_lo_u16 v74, 0x5a, v183
	ds_store_2addr_b64 v98, v[72:73], v[80:81] offset1:9
	ds_store_2addr_b64 v98, v[82:83], v[84:85] offset0:18 offset1:27
	ds_store_2addr_b64 v98, v[86:87], v[78:79] offset0:36 offset1:45
	v_mul_i32_i24_e32 v180, 5, v205
	v_sub_nc_u16 v60, v203, v74
	ds_store_2addr_b64 v98, v[90:91], v[92:93] offset0:54 offset1:63
	ds_store_2addr_b64 v98, v[68:69], v[94:95] offset0:72 offset1:81
	global_wb scope:SCOPE_SE
	s_wait_dscnt 0x0
	s_barrier_signal -1
	s_barrier_wait -1
	v_and_b32_e32 v182, 0xff, v60
	v_lshlrev_b64_e32 v[60:61], 4, v[180:181]
	global_inv scope:SCOPE_SE
	v_mul_u32_u24_e32 v77, 0x2d83, v201
	v_mul_u32_u24_e32 v93, 0x2d83, v199
	;; [unrolled: 1-line block ×3, first 2 shown]
	v_and_b32_e32 v183, 0xffff, v183
	v_add_co_u32 v100, s0, s4, v60
	v_mul_u32_u24_e32 v60, 0x2d83, v204
	s_wait_alu 0xf1ff
	v_add_co_ci_u32_e64 v101, s0, s5, v61, s0
	v_lshlrev_b32_e32 v76, 4, v62
	v_lshrrev_b32_e32 v201, 20, v77
	v_lshrrev_b32_e32 v203, 20, v60
	global_load_b128 v[132:135], v[100:101], off offset:1408
	v_lshrrev_b32_e32 v199, 20, v93
	s_clause 0x2
	global_load_b128 v[116:119], v76, s[4:5] offset:1408
	global_load_b128 v[72:75], v[100:101], off offset:1440
	global_load_b128 v[64:67], v76, s[4:5] offset:1440
	v_mul_lo_u16 v60, 0x5a, v203
	v_mul_lo_u16 v77, 0x5a, v201
	v_cmp_lt_u32_e64 s0, 0x59, v176
	v_mul_u32_u24_e32 v228, 0x10e0, v199
	v_mul_u32_u24_e32 v229, 0x10e0, v183
	v_sub_nc_u16 v60, v202, v60
	v_sub_nc_u16 v77, v200, v77
	s_wait_alu 0xf1ff
	v_cndmask_b32_e64 v204, 0, 0x10e0, s0
	v_lshlrev_b32_e32 v230, 3, v182
	v_mul_u32_u24_e32 v201, 0x10e0, v201
	v_and_b32_e32 v180, 0xffff, v60
	v_and_b32_e32 v200, 0xffff, v77
	s_delay_alu instid0(VALU_DEP_2) | instskip(NEXT) | instid1(VALU_DEP_2)
	v_mul_u32_u24_e32 v60, 5, v180
	v_mul_u32_u24_e32 v92, 5, v200
	v_lshlrev_b32_e32 v180, 3, v180
	s_delay_alu instid0(VALU_DEP_3)
	v_lshlrev_b32_e32 v102, 4, v60
	s_clause 0x6
	global_load_b128 v[60:63], v76, s[4:5] offset:1392
	global_load_b128 v[68:71], v102, s[4:5] offset:1392
	;; [unrolled: 1-line block ×7, first 2 shown]
	v_lshlrev_b32_e32 v120, 4, v92
	v_mul_lo_u16 v92, 0x5a, v199
	s_clause 0x2
	global_load_b128 v[156:159], v[100:101], off offset:1424
	global_load_b128 v[96:99], v120, s[4:5] offset:1408
	global_load_b128 v[148:151], v120, s[4:5] offset:1424
	v_sub_nc_u16 v92, v198, v92
	s_delay_alu instid0(VALU_DEP_1)
	v_and_b32_e32 v202, 0xffff, v92
	s_clause 0x1
	global_load_b128 v[92:95], v[100:101], off offset:1392
	global_load_b128 v[152:155], v[100:101], off offset:1456
	v_mul_u32_u24_e32 v103, 5, v202
	v_lshlrev_b32_e32 v202, 3, v202
	s_delay_alu instid0(VALU_DEP_2)
	v_lshlrev_b32_e32 v121, 4, v103
	s_clause 0x8
	global_load_b128 v[112:115], v121, s[4:5] offset:1424
	global_load_b128 v[100:103], v102, s[4:5] offset:1440
	;; [unrolled: 1-line block ×9, first 2 shown]
	ds_load_2addr_b64 v[206:209], v189 offset0:56 offset1:164
	ds_load_2addr_b64 v[172:175], v187 offset0:112 offset1:220
	;; [unrolled: 1-line block ×5, first 2 shown]
	s_wait_loadcnt_dscnt 0x1804
	v_mul_f64_e32 v[210:211], v[206:207], v[134:135]
	v_mul_f64_e32 v[212:213], v[56:57], v[134:135]
	s_wait_loadcnt 0x17
	v_mul_f64_e32 v[214:215], v[208:209], v[118:119]
	v_mul_f64_e32 v[216:217], v[58:59], v[118:119]
	s_wait_loadcnt_dscnt 0x1603
	v_mul_f64_e32 v[218:219], v[172:173], v[74:75]
	v_mul_f64_e32 v[220:221], v[52:53], v[74:75]
	s_wait_loadcnt 0x15
	v_mul_f64_e32 v[134:135], v[174:175], v[66:67]
	v_mul_f64_e32 v[118:119], v[54:55], v[66:67]
	s_wait_loadcnt 0x14
	v_mul_f64_e32 v[74:75], v[44:45], v[62:63]
	s_wait_dscnt 0x2
	v_mul_f64_e32 v[66:67], v[164:165], v[62:63]
	s_wait_loadcnt 0x13
	v_mul_f64_e32 v[62:63], v[166:167], v[70:71]
	v_mul_f64_e32 v[222:223], v[46:47], v[70:71]
	s_wait_loadcnt_dscnt 0x1201
	v_mul_f64_e32 v[224:225], v[168:169], v[90:91]
	v_mul_f64_e32 v[90:91], v[48:49], v[90:91]
	v_lshlrev_b32_e32 v70, 3, v205
	v_fma_f64 v[210:211], v[56:57], v[132:133], -v[210:211]
	v_fma_f64 v[132:133], v[206:207], v[132:133], v[212:213]
	s_wait_loadcnt 0x10
	v_mul_f64_e32 v[212:213], v[170:171], v[86:87]
	v_fma_f64 v[214:215], v[58:59], v[116:117], -v[214:215]
	ds_load_2addr_b64 v[56:59], v186 offset0:16 offset1:124
	v_mul_f64_e32 v[86:87], v[50:51], v[86:87]
	v_fma_f64 v[207:208], v[208:209], v[116:117], v[216:217]
	s_wait_dscnt 0x1
	v_mul_f64_e32 v[216:217], v[160:161], v[82:83]
	v_add3_u32 v70, 0, v204, v70
	v_mul_u32_u24_e32 v209, 0x10e0, v203
	ds_load_2addr_b64 v[203:206], v197 offset0:24 offset1:132
	v_fma_f64 v[218:219], v[52:53], v[72:73], -v[218:219]
	v_fma_f64 v[72:73], v[172:173], v[72:73], v[220:221]
	s_wait_loadcnt 0xe
	v_mul_f64_e32 v[172:173], v[162:163], v[78:79]
	v_mul_f64_e32 v[78:79], v[42:43], v[78:79]
	v_mul_f64_e32 v[82:83], v[40:41], v[82:83]
	v_fma_f64 v[134:135], v[54:55], v[64:65], -v[134:135]
	ds_load_2addr_b64 v[52:55], v194 offset0:104 offset1:212
	v_fma_f64 v[174:175], v[174:175], v[64:65], v[118:119]
	ds_load_2addr_b64 v[116:119], v196 offset0:32 offset1:140
	v_add3_u32 v180, 0, v209, v180
	v_add_nc_u32_e32 v71, 0x400, v70
	s_wait_loadcnt_dscnt 0xc03
	v_mul_f64_e32 v[182:183], v[58:59], v[98:99]
	v_mul_f64_e32 v[98:99], v[38:39], v[98:99]
	v_fma_f64 v[74:75], v[164:165], v[60:61], v[74:75]
	v_mul_f64_e32 v[164:165], v[56:57], v[110:111]
	v_mul_f64_e32 v[110:111], v[36:37], v[110:111]
	v_fma_f64 v[226:227], v[46:47], v[68:69], -v[62:63]
	v_fma_f64 v[68:69], v[166:167], v[68:69], v[222:223]
	s_wait_loadcnt_dscnt 0xb02
	v_mul_f64_e32 v[166:167], v[203:204], v[150:151]
	v_fma_f64 v[222:223], v[48:49], v[88:89], -v[224:225]
	v_fma_f64 v[88:89], v[168:169], v[88:89], v[90:91]
	v_mul_f64_e32 v[90:91], v[28:29], v[150:151]
	v_fma_f64 v[220:221], v[44:45], v[60:61], -v[66:67]
	s_wait_dscnt 0x1
	v_mul_f64_e32 v[168:169], v[54:55], v[158:159]
	ds_load_2addr_b64 v[64:67], v190 offset0:48 offset1:156
	ds_load_2addr_b64 v[44:47], v188 offset0:72 offset1:180
	v_fma_f64 v[150:151], v[50:51], v[84:85], -v[212:213]
	ds_load_2addr_b64 v[48:51], v195 offset0:80 offset1:188
	v_lshlrev_b32_e32 v212, 3, v200
	v_fma_f64 v[84:85], v[170:171], v[84:85], v[86:87]
	v_mul_f64_e32 v[86:87], v[18:19], v[158:159]
	v_fma_f64 v[199:200], v[40:41], v[80:81], -v[216:217]
	s_wait_loadcnt 0x9
	v_mul_f64_e32 v[40:41], v[14:15], v[154:155]
	s_wait_dscnt 0x3
	v_mul_f64_e32 v[170:171], v[118:119], v[154:155]
	ds_load_2addr_b64 v[60:63], v193 offset0:96 offset1:204
	v_add3_u32 v209, 0, v201, v212
	v_add3_u32 v213, 0, v229, v230
	v_fma_f64 v[154:155], v[42:43], v[76:77], -v[172:173]
	v_fma_f64 v[76:77], v[162:163], v[76:77], v[78:79]
	s_wait_loadcnt 0x6
	v_mul_f64_e32 v[78:79], v[32:33], v[142:143]
	v_fma_f64 v[80:81], v[160:161], v[80:81], v[82:83]
	v_mul_f64_e32 v[82:83], v[30:31], v[114:115]
	s_wait_loadcnt 0x4
	v_mul_f64_e32 v[162:163], v[34:35], v[146:147]
	v_add_nc_u32_e32 v212, 0x400, v213
	s_wait_dscnt 0x3
	v_mul_f64_e32 v[158:159], v[66:67], v[94:95]
	s_wait_dscnt 0x2
	v_mul_f64_e32 v[160:161], v[44:45], v[102:103]
	v_mul_f64_e32 v[102:103], v[24:25], v[102:103]
	s_wait_dscnt 0x1
	v_mul_f64_e32 v[42:43], v[48:49], v[142:143]
	v_mul_f64_e32 v[94:95], v[2:3], v[94:95]
	v_fma_f64 v[58:59], v[58:59], v[96:97], v[98:99]
	v_mul_f64_e32 v[142:143], v[46:47], v[106:107]
	v_mul_f64_e32 v[106:107], v[26:27], v[106:107]
	v_fma_f64 v[164:165], v[36:37], v[108:109], -v[164:165]
	v_fma_f64 v[56:57], v[56:57], v[108:109], v[110:111]
	v_mul_f64_e32 v[108:109], v[205:206], v[114:115]
	v_mul_f64_e32 v[114:115], v[50:51], v[146:147]
	v_fma_f64 v[110:111], v[38:39], v[96:97], -v[182:183]
	s_wait_loadcnt 0x3
	v_mul_f64_e32 v[96:97], v[20:21], v[138:139]
	s_wait_dscnt 0x0
	v_mul_f64_e32 v[146:147], v[60:61], v[138:139]
	s_wait_loadcnt 0x2
	v_mul_f64_e32 v[98:99], v[62:63], v[130:131]
	v_fma_f64 v[90:91], v[203:204], v[148:149], v[90:91]
	v_fma_f64 v[18:19], v[18:19], v[156:157], -v[168:169]
	v_mul_f64_e32 v[130:131], v[22:23], v[130:131]
	v_fma_f64 v[28:29], v[28:29], v[148:149], -v[166:167]
	s_wait_loadcnt 0x0
	v_mul_f64_e32 v[148:149], v[116:117], v[122:123]
	v_mul_f64_e32 v[122:123], v[12:13], v[122:123]
	v_mul_f64_e32 v[138:139], v[52:53], v[126:127]
	ds_load_2addr_b64 v[36:39], v177 offset1:108
	v_fma_f64 v[54:55], v[54:55], v[156:157], v[86:87]
	v_mul_f64_e32 v[86:87], v[16:17], v[126:127]
	v_fma_f64 v[118:119], v[118:119], v[152:153], v[40:41]
	v_fma_f64 v[14:15], v[14:15], v[152:153], -v[170:171]
	v_add3_u32 v204, 0, v228, v202
	v_add_f64_e32 v[182:183], v[207:208], v[174:175]
	v_add_nc_u32_e32 v203, 0x800, v70
	v_add_nc_u32_e32 v216, 0x800, v213
	;; [unrolled: 1-line block ×3, first 2 shown]
	v_fma_f64 v[48:49], v[48:49], v[140:141], v[78:79]
	v_add_f64_e64 v[126:127], v[88:89], -v[80:81]
	v_fma_f64 v[82:83], v[205:206], v[112:113], v[82:83]
	v_fma_f64 v[50:51], v[50:51], v[144:145], v[162:163]
	v_add_nc_u32_e32 v224, 0x800, v180
	v_fma_f64 v[2:3], v[2:3], v[92:93], -v[158:159]
	v_fma_f64 v[24:25], v[24:25], v[100:101], -v[160:161]
	v_fma_f64 v[44:45], v[44:45], v[100:101], v[102:103]
	v_fma_f64 v[32:33], v[32:33], v[140:141], -v[42:43]
	v_fma_f64 v[66:67], v[66:67], v[92:93], v[94:95]
	v_add_f64_e32 v[102:103], v[222:223], v[199:200]
	v_fma_f64 v[26:27], v[26:27], v[104:105], -v[142:143]
	v_fma_f64 v[46:47], v[46:47], v[104:105], v[106:107]
	v_add_f64_e32 v[104:105], v[88:89], v[80:81]
	v_add_f64_e32 v[106:107], v[150:151], v[154:155]
	v_fma_f64 v[30:31], v[30:31], v[112:113], -v[108:109]
	v_fma_f64 v[34:35], v[34:35], v[144:145], -v[114:115]
	v_add_f64_e32 v[114:115], v[84:85], v[76:77]
	v_fma_f64 v[60:61], v[60:61], v[136:137], v[96:97]
	v_fma_f64 v[20:21], v[20:21], v[136:137], -v[146:147]
	v_fma_f64 v[22:23], v[22:23], v[128:129], -v[98:99]
	v_add_f64_e32 v[92:93], v[214:215], v[134:135]
	v_add_f64_e32 v[88:89], v[74:75], v[88:89]
	v_fma_f64 v[62:63], v[62:63], v[128:129], v[130:131]
	v_add_f64_e32 v[98:99], v[4:5], v[210:211]
	v_fma_f64 v[12:13], v[12:13], v[120:121], -v[148:149]
	v_fma_f64 v[78:79], v[116:117], v[120:121], v[122:123]
	v_fma_f64 v[16:17], v[16:17], v[124:125], -v[138:139]
	v_add_f64_e32 v[116:117], v[6:7], v[214:215]
	v_add_f64_e32 v[120:121], v[220:221], v[222:223]
	v_fma_f64 v[52:53], v[52:53], v[124:125], v[86:87]
	v_add_f64_e32 v[100:101], v[54:55], v[118:119]
	v_add_f64_e32 v[96:97], v[18:19], v[14:15]
	v_add_f64_e64 v[108:109], v[54:55], -v[118:119]
	v_add_f64_e64 v[124:125], v[222:223], -v[199:200]
	v_add_f64_e32 v[86:87], v[210:211], v[218:219]
	v_add_f64_e32 v[136:137], v[226:227], v[150:151]
	v_add_f64_e64 v[140:141], v[150:151], -v[154:155]
	v_add_f64_e32 v[128:129], v[90:91], v[48:49]
	v_add_f64_e64 v[148:149], v[84:85], -v[76:77]
	v_add_f64_e32 v[84:85], v[68:69], v[84:85]
	v_add_f64_e32 v[138:139], v[82:83], v[50:51]
	v_add_f64_e32 v[142:143], v[8:9], v[164:165]
	v_add_f64_e32 v[94:95], v[2:3], v[18:19]
	v_add_f64_e64 v[18:19], v[18:19], -v[14:15]
	v_add_f64_e64 v[112:113], v[132:133], -v[72:73]
	v_add_f64_e32 v[122:123], v[28:29], v[32:33]
	v_add_f64_e32 v[54:55], v[66:67], v[54:55]
	v_add_f64_e64 v[160:161], v[90:91], -v[48:49]
	s_wait_dscnt 0x0
	v_add_f64_e32 v[172:173], v[36:37], v[132:133]
	v_add_f64_e32 v[132:133], v[132:133], v[72:73]
	v_fma_f64 v[74:75], v[104:105], -0.5, v[74:75]
	v_fma_f64 v[106:107], v[106:107], -0.5, v[226:227]
	v_add_f64_e32 v[146:147], v[164:165], v[24:25]
	v_add_f64_e32 v[144:145], v[30:31], v[34:35]
	v_fma_f64 v[68:69], v[114:115], -0.5, v[68:69]
	v_add_f64_e32 v[90:91], v[60:61], v[90:91]
	v_add_f64_e32 v[156:157], v[20:21], v[28:29]
	v_add_f64_e64 v[28:29], v[28:29], -v[32:33]
	v_add_f64_e32 v[168:169], v[22:23], v[30:31]
	v_add_f64_e64 v[30:31], v[30:31], -v[34:35]
	v_add_f64_e64 v[170:171], v[82:83], -v[50:51]
	v_add_f64_e32 v[82:83], v[62:63], v[82:83]
	ds_load_2addr_b64 v[40:43], v184 offset0:88 offset1:196
	v_add_f64_e32 v[152:153], v[10:11], v[110:111]
	v_add_f64_e32 v[150:151], v[110:111], v[26:27]
	;; [unrolled: 1-line block ×3, first 2 shown]
	v_fma_f64 v[6:7], v[92:93], -0.5, v[6:7]
	v_add_f64_e32 v[92:93], v[120:121], v[199:200]
	v_fma_f64 v[66:67], v[100:101], -0.5, v[66:67]
	v_fma_f64 v[2:3], v[96:97], -0.5, v[2:3]
	;; [unrolled: 1-line block ×3, first 2 shown]
	v_add_f64_e32 v[96:97], v[56:57], v[44:45]
	v_add_f64_e32 v[102:103], v[58:59], v[46:47]
	v_add_f64_e64 v[201:202], v[56:57], -v[44:45]
	v_fma_f64 v[4:5], v[86:87], -0.5, v[4:5]
	v_fma_f64 v[60:61], v[128:129], -0.5, v[60:61]
	v_add_f64_e64 v[128:129], v[58:59], -v[46:47]
	v_add_f64_e32 v[86:87], v[98:99], v[218:219]
	v_fma_f64 v[62:63], v[138:139], -0.5, v[62:63]
	v_add_f64_e32 v[98:99], v[136:137], v[154:155]
	v_add_f64_e32 v[14:15], v[94:95], v[14:15]
	v_add_f64_e32 v[94:95], v[116:117], v[134:135]
	s_wait_dscnt 0x0
	v_add_f64_e32 v[58:59], v[42:43], v[58:59]
	v_fma_f64 v[20:21], v[122:123], -0.5, v[20:21]
	v_add_f64_e64 v[122:123], v[214:215], -v[134:135]
	v_add_f64_e32 v[56:57], v[40:41], v[56:57]
	v_add_f64_e32 v[54:55], v[54:55], v[118:119]
	v_fma_f64 v[36:37], v[132:133], -0.5, v[36:37]
	v_fma_f64 v[134:135], v[124:125], s[6:7], v[74:75]
	v_add_f64_e32 v[114:115], v[52:53], v[78:79]
	v_fma_f64 v[8:9], v[146:147], -0.5, v[8:9]
	v_fma_f64 v[22:23], v[144:145], -0.5, v[22:23]
	v_fma_f64 v[118:119], v[140:141], s[6:7], v[68:69]
	v_add_f64_e64 v[144:145], v[164:165], -v[24:25]
	v_add_f64_e32 v[24:25], v[142:143], v[24:25]
	v_fma_f64 v[142:143], v[148:149], s[6:7], v[106:107]
	v_add_f64_e64 v[130:131], v[207:208], -v[174:175]
	v_add_f64_e32 v[166:167], v[0:1], v[16:17]
	v_add_f64_e64 v[138:139], v[52:53], -v[78:79]
	v_add_f64_e32 v[52:53], v[64:65], v[52:53]
	;; [unrolled: 2-line block ×3, first 2 shown]
	v_add_f64_e32 v[26:27], v[152:153], v[26:27]
	v_add_f64_e32 v[104:105], v[38:39], v[207:208]
	v_fma_f64 v[10:11], v[150:151], -0.5, v[10:11]
	v_fma_f64 v[0:1], v[162:163], -0.5, v[0:1]
	v_fma_f64 v[116:117], v[18:19], s[6:7], v[66:67]
	v_fma_f64 v[120:121], v[108:109], s[6:7], v[2:3]
	;; [unrolled: 1-line block ×3, first 2 shown]
	v_fma_f64 v[40:41], v[96:97], -0.5, v[40:41]
	v_fma_f64 v[42:43], v[102:103], -0.5, v[42:43]
	v_fma_f64 v[2:3], v[108:109], s[2:3], v[2:3]
	v_fma_f64 v[18:19], v[18:19], s[2:3], v[66:67]
	;; [unrolled: 1-line block ×9, first 2 shown]
	v_add_f64_e32 v[46:47], v[58:59], v[46:47]
	v_fma_f64 v[146:147], v[160:161], s[6:7], v[20:21]
	v_fma_f64 v[58:59], v[126:127], s[2:3], v[100:101]
	v_fma_f64 v[20:21], v[160:161], s[2:3], v[20:21]
	v_add_f64_e32 v[50:51], v[82:83], v[50:51]
	v_add_f64_e32 v[44:45], v[56:57], v[44:45]
	v_mul_f64_e32 v[82:83], s[2:3], v[134:135]
	v_add_f64_e32 v[56:57], v[84:85], v[76:77]
	v_add_f64_e32 v[80:81], v[88:89], v[80:81]
	v_fma_f64 v[102:103], v[170:171], s[6:7], v[22:23]
	v_fma_f64 v[22:23], v[170:171], s[2:3], v[22:23]
	v_mul_f64_e32 v[88:89], s[2:3], v[118:119]
	v_add_f64_e32 v[48:49], v[90:91], v[48:49]
	v_mul_f64_e32 v[90:91], -0.5, v[142:143]
	v_fma_f64 v[76:77], v[112:113], s[2:3], v[4:5]
	v_fma_f64 v[4:5], v[112:113], s[6:7], v[4:5]
	v_fma_f64 v[64:65], v[114:115], -0.5, v[64:65]
	v_add_f64_e64 v[158:159], v[210:211], -v[218:219]
	v_add_f64_e64 v[16:17], v[16:17], -v[12:13]
	v_add_f64_e32 v[34:35], v[168:169], v[34:35]
	v_add_f64_e32 v[12:13], v[166:167], v[12:13]
	;; [unrolled: 1-line block ×4, first 2 shown]
	v_add_f64_e64 v[14:15], v[86:87], -v[14:15]
	v_mul_f64_e32 v[60:61], s[2:3], v[116:117]
	v_mul_f64_e32 v[62:63], -0.5, v[120:121]
	v_mul_f64_e32 v[84:85], -0.5, v[136:137]
	v_fma_f64 v[86:87], v[130:131], s[2:3], v[6:7]
	v_fma_f64 v[6:7], v[130:131], s[6:7], v[6:7]
	v_mul_f64_e32 v[130:131], s[6:7], v[2:3]
	v_mul_f64_e32 v[140:141], -0.5, v[18:19]
	v_mul_f64_e32 v[106:107], s[2:3], v[132:133]
	v_add_f64_e32 v[72:73], v[172:173], v[72:73]
	v_fma_f64 v[38:39], v[182:183], -0.5, v[38:39]
	v_mul_f64_e32 v[112:113], s[2:3], v[96:97]
	v_add_f64_e32 v[126:127], v[26:27], v[32:33]
	v_add_f64_e64 v[26:27], v[26:27], -v[32:33]
	v_mul_f64_e32 v[148:149], -0.5, v[66:67]
	v_add_f64_e32 v[104:105], v[104:105], v[174:175]
	v_mul_f64_e32 v[108:109], -0.5, v[146:147]
	v_mul_f64_e32 v[32:33], s[6:7], v[58:59]
	v_add_f64_e32 v[124:125], v[24:25], v[98:99]
	v_add_f64_e64 v[24:25], v[24:25], -v[98:99]
	v_fma_f64 v[98:99], v[128:129], s[2:3], v[10:11]
	v_fma_f64 v[10:11], v[128:129], s[6:7], v[10:11]
	;; [unrolled: 1-line block ×3, first 2 shown]
	v_mul_f64_e32 v[152:153], s[6:7], v[74:75]
	v_mul_f64_e32 v[114:115], -0.5, v[102:103]
	v_fma_f64 v[0:1], v[138:139], s[6:7], v[0:1]
	v_mul_f64_e32 v[138:139], -0.5, v[68:69]
	v_mul_f64_e32 v[154:155], s[6:7], v[20:21]
	v_mul_f64_e32 v[156:157], -0.5, v[28:29]
	v_mul_f64_e32 v[160:161], s[6:7], v[22:23]
	v_mul_f64_e32 v[162:163], -0.5, v[30:31]
	v_fma_f64 v[58:59], v[58:59], 0.5, v[82:83]
	v_add_f64_e32 v[100:101], v[94:95], v[92:93]
	v_add_f64_e64 v[92:93], v[94:95], -v[92:93]
	v_fma_f64 v[94:95], v[201:202], s[2:3], v[8:9]
	v_fma_f64 v[8:9], v[201:202], s[6:7], v[8:9]
	v_fma_f64 v[68:69], v[68:69], s[2:3], v[90:91]
	v_add_f64_e32 v[150:151], v[12:13], v[34:35]
	v_add_f64_e64 v[12:13], v[12:13], -v[34:35]
	v_fma_f64 v[2:3], v[2:3], 0.5, v[60:61]
	v_fma_f64 v[18:19], v[18:19], s[2:3], v[62:63]
	v_fma_f64 v[60:61], v[66:67], s[2:3], v[84:85]
	v_fma_f64 v[66:67], v[74:75], 0.5, v[88:89]
	v_fma_f64 v[34:35], v[158:159], s[6:7], v[36:37]
	v_fma_f64 v[84:85], v[16:17], s[6:7], v[64:65]
	;; [unrolled: 1-line block ×3, first 2 shown]
	v_fma_f64 v[20:21], v[20:21], 0.5, v[106:107]
	v_fma_f64 v[64:65], v[116:117], 0.5, v[130:131]
	v_fma_f64 v[36:37], v[158:159], s[2:3], v[36:37]
	v_fma_f64 v[22:23], v[22:23], 0.5, v[112:113]
	v_fma_f64 v[88:89], v[120:121], s[6:7], v[140:141]
	v_add_f64_e32 v[62:63], v[72:73], v[54:55]
	v_add_f64_e64 v[72:73], v[72:73], -v[54:55]
	v_fma_f64 v[54:55], v[122:123], s[6:7], v[38:39]
	v_fma_f64 v[28:29], v[28:29], s[2:3], v[108:109]
	v_fma_f64 v[32:33], v[134:135], 0.5, v[32:33]
	v_fma_f64 v[38:39], v[122:123], s[2:3], v[38:39]
	v_fma_f64 v[106:107], v[136:137], s[6:7], v[148:149]
	;; [unrolled: 1-line block ×7, first 2 shown]
	v_add_f64_e32 v[90:91], v[104:105], v[80:81]
	v_add_f64_e64 v[80:81], v[104:105], -v[80:81]
	v_add_f64_e32 v[104:105], v[44:45], v[56:57]
	v_add_f64_e64 v[108:109], v[44:45], -v[56:57]
	v_fma_f64 v[44:45], v[118:119], 0.5, v[152:153]
	v_fma_f64 v[56:57], v[142:143], s[6:7], v[138:139]
	v_fma_f64 v[112:113], v[132:133], 0.5, v[154:155]
	v_fma_f64 v[114:115], v[146:147], s[6:7], v[156:157]
	;; [unrolled: 2-line block ×3, first 2 shown]
	v_add_nc_u32_e32 v225, 0x400, v209
	v_add_nc_u32_e32 v205, 0x800, v209
	;; [unrolled: 1-line block ×4, first 2 shown]
	v_add_f64_e32 v[116:117], v[76:77], v[2:3]
	v_add_f64_e32 v[118:119], v[4:5], v[18:19]
	v_add_f64_e64 v[2:3], v[76:77], -v[2:3]
	v_add_f64_e64 v[4:5], v[4:5], -v[18:19]
	v_add_f64_e32 v[18:19], v[86:87], v[58:59]
	v_add_f64_e32 v[76:77], v[6:7], v[60:61]
	v_add_f64_e64 v[58:59], v[86:87], -v[58:59]
	v_add_f64_e64 v[6:7], v[6:7], -v[60:61]
	;; [unrolled: 4-line block ×3, first 2 shown]
	v_add_f64_e32 v[68:69], v[98:99], v[20:21]
	v_add_f64_e64 v[20:21], v[98:99], -v[20:21]
	v_add_f64_e32 v[130:131], v[34:35], v[64:65]
	v_add_f64_e32 v[94:95], v[10:11], v[28:29]
	v_add_f64_e64 v[10:11], v[10:11], -v[28:29]
	v_add_f64_e32 v[28:29], v[128:129], v[22:23]
	v_add_f64_e64 v[22:23], v[128:129], -v[22:23]
	;; [unrolled: 2-line block ×3, first 2 shown]
	v_add_f64_e64 v[88:89], v[36:37], -v[88:89]
	v_add_f64_e32 v[134:135], v[54:55], v[32:33]
	v_add_f64_e32 v[98:99], v[0:1], v[30:31]
	v_add_f64_e64 v[0:1], v[0:1], -v[30:31]
	v_add_f64_e32 v[138:139], v[38:39], v[106:107]
	global_wb scope:SCOPE_SE
	s_barrier_signal -1
	s_barrier_wait -1
	global_inv scope:SCOPE_SE
	v_add_f64_e32 v[110:111], v[46:47], v[48:49]
	v_add_f64_e64 v[120:121], v[46:47], -v[48:49]
	v_add_f64_e32 v[122:123], v[52:53], v[50:51]
	v_add_f64_e64 v[128:129], v[52:53], -v[50:51]
	v_add_f64_e64 v[136:137], v[54:55], -v[32:33]
	v_add_f64_e64 v[106:107], v[38:39], -v[106:107]
	v_add_f64_e32 v[140:141], v[74:75], v[44:45]
	v_add_f64_e64 v[74:75], v[74:75], -v[44:45]
	v_add_f64_e32 v[142:143], v[40:41], v[56:57]
	v_add_f64_e64 v[144:145], v[40:41], -v[56:57]
	v_add_f64_e32 v[146:147], v[82:83], v[112:113]
	v_add_f64_e64 v[82:83], v[82:83], -v[112:113]
	v_add_f64_e32 v[112:113], v[42:43], v[114:115]
	v_add_f64_e64 v[114:115], v[42:43], -v[114:115]
	v_add_f64_e32 v[148:149], v[84:85], v[96:97]
	v_add_f64_e64 v[84:85], v[84:85], -v[96:97]
	v_add_f64_e32 v[96:97], v[16:17], v[102:103]
	v_add_f64_e64 v[102:103], v[16:17], -v[102:103]
	ds_store_2addr_b64 v70, v[78:79], v[116:117] offset1:90
	ds_store_2addr_b64 v71, v[118:119], v[14:15] offset0:52 offset1:142
	ds_store_2addr_b64 v203, v[2:3], v[4:5] offset0:104 offset1:194
	ds_store_2addr_b64 v213, v[100:101], v[18:19] offset1:90
	ds_store_2addr_b64 v212, v[76:77], v[92:93] offset0:52 offset1:142
	ds_store_2addr_b64 v216, v[58:59], v[6:7] offset0:104 offset1:194
	;; [unrolled: 3-line block ×5, first 2 shown]
	global_wb scope:SCOPE_SE
	s_wait_dscnt 0x0
	s_barrier_signal -1
	s_barrier_wait -1
	global_inv scope:SCOPE_SE
	ds_load_2addr_b64 v[0:3], v177 offset1:108
	ds_load_2addr_b64 v[8:11], v190 offset0:48 offset1:156
	ds_load_2addr_b64 v[16:19], v189 offset0:56 offset1:164
	;; [unrolled: 1-line block ×14, first 2 shown]
	global_wb scope:SCOPE_SE
	s_wait_dscnt 0x0
	s_barrier_signal -1
	s_barrier_wait -1
	global_inv scope:SCOPE_SE
	ds_store_2addr_b64 v70, v[62:63], v[130:131] offset1:90
	ds_store_2addr_b64 v71, v[132:133], v[72:73] offset0:52 offset1:142
	ds_store_2addr_b64 v203, v[64:65], v[88:89] offset0:104 offset1:194
	ds_store_2addr_b64 v213, v[90:91], v[134:135] offset1:90
	ds_store_2addr_b64 v212, v[138:139], v[80:81] offset0:52 offset1:142
	ds_store_2addr_b64 v216, v[136:137], v[106:107] offset0:104 offset1:194
	;; [unrolled: 3-line block ×5, first 2 shown]
	global_wb scope:SCOPE_SE
	s_wait_dscnt 0x0
	s_barrier_signal -1
	s_barrier_wait -1
	global_inv scope:SCOPE_SE
	s_and_saveexec_b32 s0, vcc_lo
	s_cbranch_execz .LBB0_13
; %bb.12:
	v_mul_u32_u24_e32 v60, 5, v198
	v_mul_u32_u24_e32 v61, 5, v176
	v_mad_u32_u24 v180, v198, 5, 0xfffffde4
	s_delay_alu instid0(VALU_DEP_3) | instskip(NEXT) | instid1(VALU_DEP_3)
	v_lshlrev_b32_e32 v84, 4, v60
	v_lshlrev_b32_e32 v98, 4, v61
	s_delay_alu instid0(VALU_DEP_3)
	v_lshlrev_b64_e32 v[96:97], 4, v[180:181]
	v_mad_u32_u24 v180, v198, 5, 0xfffffbc8
	s_clause 0x8
	global_load_b128 v[60:63], v84, s[4:5] offset:8608
	global_load_b128 v[64:67], v98, s[4:5] offset:8624
	;; [unrolled: 1-line block ×9, first 2 shown]
	v_lshlrev_b64_e32 v[112:113], 4, v[180:181]
	v_mad_u32_u24 v180, v198, 5, 0xfffff9ac
	v_add_co_u32 v116, vcc_lo, s4, v96
	s_wait_alu 0xfffd
	v_add_co_ci_u32_e32 v117, vcc_lo, s5, v97, vcc_lo
	s_delay_alu instid0(VALU_DEP_3)
	v_lshlrev_b64_e32 v[138:139], 4, v[180:181]
	v_add_co_u32 v136, vcc_lo, s4, v112
	s_wait_alu 0xfffd
	v_add_co_ci_u32_e32 v137, vcc_lo, s5, v113, vcc_lo
	global_load_b128 v[96:99], v98, s[4:5] offset:8592
	v_add_co_u32 v156, vcc_lo, s4, v138
	s_clause 0x8
	global_load_b128 v[100:103], v[116:117], off offset:8608
	global_load_b128 v[104:107], v[116:117], off offset:8640
	;; [unrolled: 1-line block ×9, first 2 shown]
	s_wait_alu 0xfffd
	v_add_co_ci_u32_e32 v157, vcc_lo, s5, v139, vcc_lo
	s_clause 0x5
	global_load_b128 v[136:139], v[136:137], off offset:8656
	global_load_b128 v[140:143], v[156:157], off offset:8608
	;; [unrolled: 1-line block ×6, first 2 shown]
	ds_load_2addr_b64 v[160:163], v194 offset0:104 offset1:212
	ds_load_2addr_b64 v[164:167], v196 offset0:32 offset1:140
	;; [unrolled: 1-line block ×3, first 2 shown]
	v_mul_hi_u32 v180, 0xf2b9d649, v198
	s_delay_alu instid0(VALU_DEP_1) | instskip(NEXT) | instid1(VALU_DEP_1)
	v_lshrrev_b32_e32 v180, 9, v180
	v_mul_u32_u24_e32 v180, 0xa8c, v180
	s_wait_loadcnt_dscnt 0x1802
	v_mul_f64_e32 v[182:183], v[62:63], v[160:161]
	v_mul_f64_e32 v[215:216], v[60:61], v[160:161]
	s_wait_loadcnt 0x17
	v_mul_f64_e32 v[217:218], v[66:67], v[162:163]
	v_mul_f64_e32 v[219:220], v[64:65], v[162:163]
	s_wait_loadcnt_dscnt 0x1601
	v_mul_f64_e32 v[221:222], v[70:71], v[164:165]
	v_mul_f64_e32 v[223:224], v[68:69], v[164:165]
	ds_load_2addr_b64 v[160:163], v195 offset0:80 offset1:188
	s_wait_loadcnt 0x15
	v_mul_f64_e32 v[225:226], v[74:75], v[166:167]
	v_mul_f64_e32 v[227:228], v[72:73], v[166:167]
	ds_load_2addr_b64 v[164:167], v193 offset0:96 offset1:204
	ds_load_2addr_b64 v[172:175], v189 offset0:56 offset1:164
	;; [unrolled: 1-line block ×8, first 2 shown]
	s_wait_loadcnt_dscnt 0x1409
	v_mul_f64_e32 v[229:230], v[78:79], v[170:171]
	v_mul_f64_e32 v[170:171], v[76:77], v[170:171]
	s_wait_loadcnt_dscnt 0x1308
	v_mul_f64_e32 v[190:191], v[82:83], v[162:163]
	v_mul_f64_e32 v[162:163], v[80:81], v[162:163]
	s_wait_loadcnt_dscnt 0x1207
	v_mul_f64_e32 v[197:198], v[86:87], v[166:167]
	v_mul_f64_e32 v[166:167], v[84:85], v[166:167]
	v_fma_f64 v[60:61], v[56:57], v[60:61], -v[182:183]
	s_wait_loadcnt_dscnt 0x1106
	v_mul_f64_e32 v[182:183], v[90:91], v[172:173]
	v_mul_f64_e32 v[172:173], v[88:89], v[172:173]
	v_fma_f64 v[62:63], v[56:57], v[62:63], v[215:216]
	s_wait_loadcnt_dscnt 0x1005
	v_mul_f64_e32 v[215:216], v[94:95], v[193:194]
	v_mul_f64_e32 v[192:193], v[92:93], v[193:194]
	v_fma_f64 v[64:65], v[58:59], v[64:65], -v[217:218]
	v_fma_f64 v[66:67], v[58:59], v[66:67], v[219:220]
	ds_load_2addr_b64 v[56:59], v185 offset0:120 offset1:228
	v_fma_f64 v[68:69], v[52:53], v[68:69], -v[221:222]
	s_wait_loadcnt_dscnt 0xf05
	v_mul_f64_e32 v[217:218], v[98:99], v[201:202]
	v_mul_f64_e32 v[201:202], v[96:97], v[201:202]
	s_wait_loadcnt_dscnt 0xe04
	v_mul_f64_e32 v[219:220], v[102:103], v[205:206]
	s_wait_loadcnt_dscnt 0xd03
	v_mul_f64_e32 v[221:222], v[106:107], v[188:189]
	v_mul_f64_e32 v[205:206], v[100:101], v[205:206]
	v_fma_f64 v[76:77], v[46:47], v[76:77], -v[229:230]
	v_fma_f64 v[46:47], v[46:47], v[78:79], v[170:171]
	v_mul_f64_e32 v[78:79], v[104:105], v[188:189]
	s_wait_loadcnt 0xc
	v_mul_f64_e32 v[170:171], v[110:111], v[168:169]
	v_mul_f64_e32 v[168:169], v[108:109], v[168:169]
	s_wait_loadcnt 0xb
	v_mul_f64_e32 v[188:189], v[114:115], v[160:161]
	v_mul_f64_e32 v[160:161], v[112:113], v[160:161]
	v_fma_f64 v[70:71], v[52:53], v[70:71], v[223:224]
	s_wait_loadcnt 0xa
	v_mul_f64_e32 v[223:224], v[118:119], v[164:165]
	v_fma_f64 v[72:73], v[54:55], v[72:73], -v[225:226]
	v_fma_f64 v[74:75], v[54:55], v[74:75], v[227:228]
	v_fma_f64 v[80:81], v[50:51], v[80:81], -v[190:191]
	v_fma_f64 v[50:51], v[50:51], v[82:83], v[162:163]
	s_wait_loadcnt_dscnt 0x701
	v_mul_f64_e32 v[162:163], v[130:131], v[213:214]
	v_fma_f64 v[84:85], v[42:43], v[84:85], -v[197:198]
	v_fma_f64 v[42:43], v[42:43], v[86:87], v[166:167]
	s_wait_loadcnt_dscnt 0x500
	v_mul_f64_e32 v[86:87], v[138:139], v[58:59]
	v_mul_f64_e32 v[166:167], v[128:129], v[213:214]
	;; [unrolled: 1-line block ×3, first 2 shown]
	s_wait_loadcnt 0x3
	v_mul_f64_e32 v[190:191], v[144:145], v[195:196]
	v_mul_f64_e32 v[164:165], v[116:117], v[164:165]
	;; [unrolled: 1-line block ×5, first 2 shown]
	v_fma_f64 v[88:89], v[16:17], v[88:89], -v[182:183]
	v_fma_f64 v[16:17], v[16:17], v[90:91], v[172:173]
	v_mul_f64_e32 v[90:91], v[136:137], v[58:59]
	v_mul_f64_e32 v[182:183], v[146:147], v[195:196]
	;; [unrolled: 1-line block ×3, first 2 shown]
	v_fma_f64 v[92:93], v[28:29], v[92:93], -v[215:216]
	v_fma_f64 v[28:29], v[28:29], v[94:95], v[192:193]
	s_wait_loadcnt 0x1
	v_mul_f64_e32 v[192:193], v[154:155], v[211:212]
	v_mul_f64_e32 v[196:197], v[152:153], v[211:212]
	s_wait_loadcnt 0x0
	v_mul_f64_e32 v[209:210], v[158:159], v[56:57]
	v_mul_f64_e32 v[211:212], v[156:157], v[56:57]
	;; [unrolled: 1-line block ×4, first 2 shown]
	v_fma_f64 v[96:97], v[10:11], v[96:97], -v[217:218]
	v_fma_f64 v[10:11], v[10:11], v[98:99], v[201:202]
	v_fma_f64 v[98:99], v[34:35], v[100:101], -v[219:220]
	v_fma_f64 v[100:101], v[38:39], v[104:105], -v[221:222]
	v_fma_f64 v[34:35], v[34:35], v[102:103], v[205:206]
	v_fma_f64 v[102:103], v[44:45], v[108:109], -v[170:171]
	v_fma_f64 v[104:105], v[48:49], v[112:113], -v[188:189]
	v_fma_f64 v[44:45], v[44:45], v[110:111], v[168:169]
	v_fma_f64 v[48:49], v[48:49], v[114:115], v[160:161]
	v_mul_f64_e32 v[172:173], v[142:143], v[174:175]
	v_fma_f64 v[38:39], v[38:39], v[106:107], v[78:79]
	v_fma_f64 v[78:79], v[40:41], v[116:117], -v[223:224]
	v_mul_f64_e32 v[185:186], v[124:125], v[186:187]
	v_mul_f64_e32 v[174:175], v[140:141], v[174:175]
	v_fma_f64 v[110:111], v[22:23], v[128:129], -v[162:163]
	v_add_f64_e32 v[128:129], v[46:47], v[50:51]
	ds_load_2addr_b64 v[56:59], v177 offset1:108
	v_mov_b32_e32 v177, v181
	v_fma_f64 v[86:87], v[26:27], v[136:137], -v[86:87]
	v_fma_f64 v[22:23], v[22:23], v[130:131], v[166:167]
	v_fma_f64 v[82:83], v[14:15], v[132:133], -v[82:83]
	v_fma_f64 v[40:41], v[40:41], v[118:119], v[164:165]
	v_fma_f64 v[106:107], v[32:33], v[120:121], -v[225:226]
	v_fma_f64 v[108:109], v[36:37], v[124:125], -v[227:228]
	v_add_f64_e32 v[136:137], v[66:67], v[74:75]
	v_fma_f64 v[32:33], v[32:33], v[122:123], v[203:204]
	v_add_f64_e32 v[122:123], v[76:77], v[80:81]
	v_fma_f64 v[26:27], v[26:27], v[138:139], v[90:91]
	;; [unrolled: 2-line block ×3, first 2 shown]
	v_add_f64_e64 v[118:119], v[60:61], -v[68:69]
	v_add_f64_e64 v[124:125], v[46:47], -v[50:51]
	v_fma_f64 v[114:115], v[20:21], v[152:153], -v[192:193]
	v_fma_f64 v[20:21], v[20:21], v[154:155], v[196:197]
	v_fma_f64 v[116:117], v[24:25], v[156:157], -v[209:210]
	v_fma_f64 v[24:25], v[24:25], v[158:159], v[211:212]
	;; [unrolled: 2-line block ×3, first 2 shown]
	v_add_f64_e32 v[46:47], v[42:43], v[46:47]
	v_add_f64_e32 v[132:133], v[60:61], v[68:69]
	;; [unrolled: 1-line block ×3, first 2 shown]
	ds_load_2addr_b64 v[52:55], v184 offset0:88 offset1:196
	v_fma_f64 v[112:113], v[30:31], v[144:145], -v[182:183]
	v_add_f64_e32 v[130:131], v[62:63], v[199:200]
	v_add_f64_e32 v[152:153], v[102:103], v[104:105]
	v_add_f64_e64 v[134:135], v[88:89], -v[92:93]
	v_add_f64_e32 v[150:151], v[44:45], v[48:49]
	v_fma_f64 v[90:91], v[18:19], v[140:141], -v[172:173]
	v_add_f64_e64 v[144:145], v[64:65], -v[72:73]
	v_add_f64_e32 v[148:149], v[88:89], v[92:93]
	v_fma_f64 v[36:37], v[36:37], v[126:127], v[185:186]
	v_fma_f64 v[18:19], v[18:19], v[142:143], v[174:175]
	v_add_f64_e64 v[126:127], v[76:77], -v[80:81]
	v_add_f64_e32 v[76:77], v[84:85], v[76:77]
	v_add_f64_e64 v[142:143], v[66:67], -v[74:75]
	v_add_f64_e32 v[66:67], v[10:11], v[66:67]
	v_add_f64_e32 v[158:159], v[110:111], v[86:87]
	;; [unrolled: 1-line block ×4, first 2 shown]
	v_add_f64_e64 v[154:155], v[98:99], -v[100:101]
	v_add_f64_e64 v[162:163], v[44:45], -v[48:49]
	;; [unrolled: 1-line block ×3, first 2 shown]
	v_add_f64_e32 v[44:45], v[40:41], v[44:45]
	v_add_f64_e32 v[168:169], v[98:99], v[100:101]
	;; [unrolled: 1-line block ×5, first 2 shown]
	v_add_f64_e64 v[174:175], v[106:107], -v[108:109]
	v_add_f64_e64 v[182:183], v[22:23], -v[26:27]
	;; [unrolled: 1-line block ×3, first 2 shown]
	v_add_f64_e32 v[22:23], v[14:15], v[22:23]
	v_add_f64_e32 v[188:189], v[106:107], v[108:109]
	v_add_f64_e32 v[170:171], v[114:115], v[116:117]
	v_add_f64_e32 v[172:173], v[20:21], v[24:25]
	v_fma_f64 v[42:43], v[128:129], -0.5, v[42:43]
	v_add_f64_e32 v[106:107], v[4:5], v[106:107]
	v_fma_f64 v[10:11], v[136:137], -0.5, v[10:11]
	v_add_f64_e32 v[110:111], v[82:83], v[110:111]
	v_fma_f64 v[30:31], v[30:31], v[146:147], v[190:191]
	v_add_f64_e32 v[120:121], v[62:63], v[70:71]
	v_fma_f64 v[84:85], v[122:123], -0.5, v[84:85]
	v_fma_f64 v[96:97], v[138:139], -0.5, v[96:97]
	;; [unrolled: 1-line block ×3, first 2 shown]
	v_add_f64_e32 v[140:141], v[16:17], v[28:29]
	v_fma_f64 v[40:41], v[150:151], -0.5, v[40:41]
	s_wait_dscnt 0x1
	v_add_f64_e32 v[146:147], v[16:17], v[56:57]
	v_add_f64_e64 v[136:137], v[20:21], -v[24:25]
	v_add_f64_e64 v[138:139], v[114:115], -v[116:117]
	v_add_f64_e32 v[20:21], v[12:13], v[20:21]
	v_add_f64_e32 v[46:47], v[46:47], v[50:51]
	;; [unrolled: 1-line block ×4, first 2 shown]
	v_add_co_u32 v198, vcc_lo, s8, v178
	v_fma_f64 v[82:83], v[158:159], -0.5, v[82:83]
	s_wait_alu 0xfffd
	v_add_co_ci_u32_e32 v213, vcc_lo, s9, v179, vcc_lo
	v_lshlrev_b64_e32 v[178:179], 4, v[180:181]
	v_add_f64_e64 v[62:63], v[62:63], -v[70:71]
	v_add_f64_e32 v[180:181], v[32:33], v[36:37]
	v_add_f64_e32 v[150:151], v[90:91], v[112:113]
	;; [unrolled: 1-line block ×4, first 2 shown]
	v_fma_f64 v[14:15], v[160:161], -0.5, v[14:15]
	v_add_f64_e32 v[76:77], v[88:89], v[92:93]
	v_add_f64_e32 v[64:65], v[64:65], v[72:73]
	v_add_f64_e32 v[88:89], v[98:99], v[100:101]
	v_add_f64_e32 v[100:101], v[102:103], v[104:105]
	v_add_f64_e64 v[122:123], v[90:91], -v[112:113]
	v_add_f64_e32 v[190:191], v[18:19], v[58:59]
	v_fma_f64 v[68:69], v[170:171], -0.5, v[94:95]
	v_fma_f64 v[12:13], v[172:173], -0.5, v[12:13]
	v_fma_f64 v[72:73], v[126:127], s[2:3], v[42:43]
	v_add_f64_e32 v[106:107], v[106:107], v[108:109]
	v_fma_f64 v[98:99], v[144:145], s[6:7], v[10:11]
	v_add_f64_e32 v[86:87], v[110:111], v[86:87]
	v_add_f64_e32 v[128:129], v[18:19], v[30:31]
	v_add_f64_e64 v[152:153], v[18:19], -v[30:31]
	v_add_f64_e32 v[18:19], v[2:3], v[90:91]
	v_add_f64_e32 v[90:91], v[94:95], v[114:115]
	v_fma_f64 v[114:115], v[120:121], -0.5, v[199:200]
	v_fma_f64 v[120:121], v[162:163], s[2:3], v[78:79]
	v_fma_f64 v[104:105], v[164:165], s[2:3], v[40:41]
	;; [unrolled: 1-line block ×3, first 2 shown]
	s_wait_dscnt 0x0
	v_add_f64_e32 v[166:167], v[34:35], v[54:55]
	v_fma_f64 v[8:9], v[132:133], -0.5, v[8:9]
	v_fma_f64 v[80:81], v[124:125], s[2:3], v[84:85]
	v_fma_f64 v[92:93], v[144:145], s[2:3], v[10:11]
	;; [unrolled: 1-line block ×3, first 2 shown]
	v_fma_f64 v[56:57], v[140:141], -0.5, v[56:57]
	v_fma_f64 v[78:79], v[162:163], s[6:7], v[78:79]
	v_fma_f64 v[96:97], v[142:143], s[6:7], v[96:97]
	;; [unrolled: 1-line block ×4, first 2 shown]
	v_add_f64_e64 v[16:17], v[16:17], -v[28:29]
	v_add_f64_e32 v[28:29], v[28:29], v[146:147]
	v_add_f64_e32 v[66:67], v[66:67], v[74:75]
	v_fma_f64 v[54:55], v[156:157], -0.5, v[54:55]
	v_add_f64_e32 v[102:103], v[22:23], v[26:27]
	v_fma_f64 v[22:23], v[126:127], s[6:7], v[42:43]
	v_add_f64_e32 v[140:141], v[20:21], v[24:25]
	v_fma_f64 v[110:111], v[184:185], s[6:7], v[14:15]
	v_fma_f64 v[132:133], v[184:185], s[2:3], v[14:15]
	;; [unrolled: 1-line block ×3, first 2 shown]
	v_add_f64_e32 v[186:187], v[32:33], v[52:53]
	v_add_f64_e64 v[32:33], v[32:33], -v[36:37]
	v_fma_f64 v[74:75], v[148:149], -0.5, v[0:1]
	v_add_f64_e32 v[44:45], v[44:45], v[48:49]
	v_fma_f64 v[144:145], v[136:137], s[2:3], v[68:69]
	v_fma_f64 v[146:147], v[138:139], s[6:7], v[12:13]
	;; [unrolled: 1-line block ×4, first 2 shown]
	v_fma_f64 v[48:49], v[168:169], -0.5, v[6:7]
	v_fma_f64 v[52:53], v[180:181], -0.5, v[52:53]
	;; [unrolled: 1-line block ×4, first 2 shown]
	v_add_f64_e64 v[2:3], v[70:71], -v[46:47]
	v_mul_f64_e32 v[24:25], -0.5, v[72:73]
	v_mul_f64_e32 v[84:85], s[2:3], v[98:99]
	v_add_f64_e32 v[6:7], v[70:71], v[46:47]
	v_add_f64_e64 v[34:35], v[34:35], -v[38:39]
	v_mul_f64_e32 v[70:71], s[2:3], v[40:41]
	v_add_f64_e64 v[0:1], v[50:51], -v[60:61]
	v_add_f64_e32 v[4:5], v[50:51], v[60:61]
	v_mul_f64_e32 v[50:51], s[6:7], v[120:121]
	v_add_f64_e32 v[38:39], v[38:39], v[166:167]
	v_fma_f64 v[58:59], v[128:129], -0.5, v[58:59]
	v_add_f64_e32 v[128:129], v[30:31], v[190:191]
	v_mul_f64_e32 v[26:27], s[6:7], v[80:81]
	v_mul_f64_e32 v[30:31], -0.5, v[92:93]
	v_mul_f64_e32 v[136:137], s[6:7], v[108:109]
	v_mul_f64_e32 v[42:43], s[6:7], v[94:95]
	v_mul_f64_e32 v[156:157], -0.5, v[82:83]
	v_add_f64_e32 v[90:91], v[90:91], v[116:117]
	v_fma_f64 v[116:117], v[118:119], s[2:3], v[114:115]
	v_fma_f64 v[118:119], v[118:119], s[6:7], v[114:115]
	;; [unrolled: 1-line block ×3, first 2 shown]
	v_mul_f64_e32 v[46:47], -0.5, v[104:105]
	v_fma_f64 v[114:115], v[134:135], s[6:7], v[56:57]
	v_mul_f64_e32 v[148:149], s[2:3], v[110:111]
	v_mul_f64_e32 v[150:151], -0.5, v[132:133]
	v_mul_f64_e32 v[56:57], -0.5, v[78:79]
	v_fma_f64 v[124:125], v[62:63], s[6:7], v[8:9]
	v_fma_f64 v[126:127], v[62:63], s[2:3], v[8:9]
	v_mul_f64_e32 v[62:63], -0.5, v[96:97]
	v_add_f64_e64 v[10:11], v[28:29], -v[66:67]
	v_add_f64_e64 v[8:9], v[76:77], -v[64:65]
	v_add_f64_e32 v[14:15], v[28:29], v[66:67]
	v_add_f64_e32 v[12:13], v[76:77], v[64:65]
	v_mul_f64_e32 v[28:29], s[6:7], v[144:145]
	v_mul_f64_e32 v[64:65], s[2:3], v[146:147]
	v_mul_f64_e32 v[66:67], -0.5, v[138:139]
	v_mul_f64_e32 v[158:159], -0.5, v[68:69]
	v_fma_f64 v[76:77], v[154:155], s[2:3], v[54:55]
	v_fma_f64 v[154:155], v[154:155], s[6:7], v[54:55]
	v_mul_f64_e32 v[54:55], s[2:3], v[22:23]
	v_mul_f64_e32 v[162:163], -0.5, v[20:21]
	v_add_f64_e32 v[36:37], v[36:37], v[186:187]
	v_add_f64_e32 v[112:113], v[18:19], v[112:113]
	v_fma_f64 v[134:135], v[16:17], s[6:7], v[74:75]
	v_fma_f64 v[74:75], v[16:17], s[2:3], v[74:75]
	v_add_f64_e64 v[16:17], v[88:89], -v[100:101]
	v_fma_f64 v[164:165], v[20:21], s[6:7], v[24:25]
	v_fma_f64 v[84:85], v[94:95], 0.5, v[84:85]
	v_add_f64_e32 v[20:21], v[88:89], v[100:101]
	v_fma_f64 v[94:95], v[174:175], s[6:7], v[52:53]
	v_fma_f64 v[88:89], v[120:121], 0.5, v[70:71]
	v_fma_f64 v[120:121], v[32:33], s[2:3], v[130:131]
	v_fma_f64 v[110:111], v[110:111], 0.5, v[136:137]
	v_fma_f64 v[160:161], v[34:35], s[6:7], v[48:49]
	v_fma_f64 v[48:49], v[34:35], s[2:3], v[48:49]
	v_fma_f64 v[40:41], v[40:41], 0.5, v[50:51]
	v_add_f64_e64 v[18:19], v[38:39], -v[44:45]
	v_fma_f64 v[166:167], v[22:23], 0.5, v[26:27]
	v_add_f64_e32 v[22:23], v[38:39], v[44:45]
	v_fma_f64 v[44:45], v[96:97], s[6:7], v[30:31]
	v_fma_f64 v[96:97], v[98:99], 0.5, v[42:43]
	v_fma_f64 v[108:109], v[108:109], 0.5, v[148:149]
	v_fma_f64 v[98:99], v[174:175], s[2:3], v[52:53]
	v_fma_f64 v[100:101], v[32:33], s[6:7], v[130:131]
	;; [unrolled: 1-line block ×11, first 2 shown]
	v_fma_f64 v[146:147], v[146:147], 0.5, v[28:29]
	v_fma_f64 v[144:145], v[144:145], 0.5, v[64:65]
	v_fma_f64 v[150:151], v[68:69], s[6:7], v[66:67]
	v_fma_f64 v[138:139], v[138:139], s[2:3], v[158:159]
	v_add_f64_e64 v[34:35], v[128:129], -v[140:141]
	v_add_f64_e32 v[38:39], v[128:129], v[140:141]
	v_fma_f64 v[128:129], v[80:81], 0.5, v[54:55]
	v_fma_f64 v[140:141], v[72:73], s[2:3], v[162:163]
	v_add_f64_e32 v[30:31], v[36:37], v[102:103]
	v_add_f64_e32 v[28:29], v[106:107], v[86:87]
	v_add_f64_e64 v[26:27], v[36:37], -v[102:103]
	v_add_f64_e64 v[24:25], v[106:107], -v[86:87]
	v_add_f64_e32 v[36:37], v[112:113], v[90:91]
	v_add_f64_e64 v[32:33], v[112:113], -v[90:91]
	v_add_f64_e64 v[56:57], v[74:75], -v[84:85]
	v_add_f64_e32 v[64:65], v[74:75], v[84:85]
	v_lshlrev_b64_e32 v[176:177], 4, v[176:177]
	v_add_f64_e32 v[86:87], v[94:95], v[110:111]
	v_add_f64_e64 v[94:95], v[94:95], -v[110:111]
	v_add_f64_e32 v[80:81], v[48:49], v[88:89]
	v_add_f64_e32 v[82:83], v[154:155], v[40:41]
	v_add_f64_e64 v[72:73], v[48:49], -v[88:89]
	v_add_f64_e64 v[74:75], v[154:155], -v[40:41]
	;; [unrolled: 1-line block ×4, first 2 shown]
	v_add_f64_e32 v[62:63], v[60:61], v[44:45]
	v_add_f64_e32 v[84:85], v[120:121], v[108:109]
	v_add_f64_e64 v[58:59], v[114:115], -v[96:97]
	v_add_f64_e32 v[66:67], v[114:115], v[96:97]
	v_add_f64_e32 v[90:91], v[98:99], v[130:131]
	;; [unrolled: 1-line block ×3, first 2 shown]
	v_add_f64_e64 v[70:71], v[76:77], -v[78:79]
	v_add_f64_e32 v[78:79], v[76:77], v[78:79]
	v_add_f64_e32 v[76:77], v[160:161], v[104:105]
	v_add_f64_e64 v[52:53], v[134:135], -v[92:93]
	v_add_f64_e32 v[60:61], v[134:135], v[92:93]
	v_add_f64_e64 v[92:93], v[120:121], -v[108:109]
	v_add_f64_e64 v[98:99], v[98:99], -v[130:131]
	;; [unrolled: 1-line block ×4, first 2 shown]
	v_add_f64_e32 v[102:103], v[122:123], v[146:147]
	v_add_f64_e32 v[100:101], v[142:143], v[144:145]
	;; [unrolled: 1-line block ×4, first 2 shown]
	v_add_f64_e64 v[110:111], v[122:123], -v[146:147]
	v_add_f64_e64 v[108:109], v[142:143], -v[144:145]
	;; [unrolled: 1-line block ×5, first 2 shown]
	v_add_f64_e32 v[50:51], v[116:117], v[164:165]
	v_add_f64_e32 v[118:119], v[118:119], v[166:167]
	v_add_f64_e32 v[116:117], v[126:127], v[128:129]
	v_add_f64_e32 v[48:49], v[124:125], v[140:141]
	v_add_f64_e64 v[44:45], v[126:127], -v[128:129]
	v_add_f64_e64 v[40:41], v[124:125], -v[140:141]
	v_add_co_u32 v120, vcc_lo, v198, v176
	s_wait_alu 0xfffd
	v_add_co_ci_u32_e32 v121, vcc_lo, v213, v177, vcc_lo
	s_delay_alu instid0(VALU_DEP_2) | instskip(SKIP_1) | instid1(VALU_DEP_2)
	v_add_co_u32 v122, vcc_lo, v120, v178
	s_wait_alu 0xfffd
	v_add_co_ci_u32_e32 v123, vcc_lo, v121, v179, vcc_lo
	s_clause 0x1d
	global_store_b128 v[120:121], v[28:31], off offset:3456
	global_store_b128 v[120:121], v[20:23], off offset:5184
	;; [unrolled: 1-line block ×4, first 2 shown]
	global_store_b128 v[120:121], v[12:15], off
	global_store_b128 v[120:121], v[36:39], off offset:1728
	global_store_b128 v[120:121], v[8:11], off offset:25920
	;; [unrolled: 1-line block ×25, first 2 shown]
.LBB0_13:
	s_nop 0
	s_sendmsg sendmsg(MSG_DEALLOC_VGPRS)
	s_endpgm
	.section	.rodata,"a",@progbits
	.p2align	6, 0x0
	.amdhsa_kernel fft_rtc_fwd_len3240_factors_3_3_10_6_6_wgs_108_tpt_108_halfLds_dp_ip_CI_unitstride_sbrr_dirReg
		.amdhsa_group_segment_fixed_size 0
		.amdhsa_private_segment_fixed_size 0
		.amdhsa_kernarg_size 88
		.amdhsa_user_sgpr_count 2
		.amdhsa_user_sgpr_dispatch_ptr 0
		.amdhsa_user_sgpr_queue_ptr 0
		.amdhsa_user_sgpr_kernarg_segment_ptr 1
		.amdhsa_user_sgpr_dispatch_id 0
		.amdhsa_user_sgpr_private_segment_size 0
		.amdhsa_wavefront_size32 1
		.amdhsa_uses_dynamic_stack 0
		.amdhsa_enable_private_segment 0
		.amdhsa_system_sgpr_workgroup_id_x 1
		.amdhsa_system_sgpr_workgroup_id_y 0
		.amdhsa_system_sgpr_workgroup_id_z 0
		.amdhsa_system_sgpr_workgroup_info 0
		.amdhsa_system_vgpr_workitem_id 0
		.amdhsa_next_free_vgpr 240
		.amdhsa_next_free_sgpr 32
		.amdhsa_reserve_vcc 1
		.amdhsa_float_round_mode_32 0
		.amdhsa_float_round_mode_16_64 0
		.amdhsa_float_denorm_mode_32 3
		.amdhsa_float_denorm_mode_16_64 3
		.amdhsa_fp16_overflow 0
		.amdhsa_workgroup_processor_mode 1
		.amdhsa_memory_ordered 1
		.amdhsa_forward_progress 0
		.amdhsa_round_robin_scheduling 0
		.amdhsa_exception_fp_ieee_invalid_op 0
		.amdhsa_exception_fp_denorm_src 0
		.amdhsa_exception_fp_ieee_div_zero 0
		.amdhsa_exception_fp_ieee_overflow 0
		.amdhsa_exception_fp_ieee_underflow 0
		.amdhsa_exception_fp_ieee_inexact 0
		.amdhsa_exception_int_div_zero 0
	.end_amdhsa_kernel
	.text
.Lfunc_end0:
	.size	fft_rtc_fwd_len3240_factors_3_3_10_6_6_wgs_108_tpt_108_halfLds_dp_ip_CI_unitstride_sbrr_dirReg, .Lfunc_end0-fft_rtc_fwd_len3240_factors_3_3_10_6_6_wgs_108_tpt_108_halfLds_dp_ip_CI_unitstride_sbrr_dirReg
                                        ; -- End function
	.section	.AMDGPU.csdata,"",@progbits
; Kernel info:
; codeLenInByte = 18404
; NumSgprs: 34
; NumVgprs: 240
; ScratchSize: 0
; MemoryBound: 1
; FloatMode: 240
; IeeeMode: 1
; LDSByteSize: 0 bytes/workgroup (compile time only)
; SGPRBlocks: 4
; VGPRBlocks: 29
; NumSGPRsForWavesPerEU: 34
; NumVGPRsForWavesPerEU: 240
; Occupancy: 6
; WaveLimiterHint : 1
; COMPUTE_PGM_RSRC2:SCRATCH_EN: 0
; COMPUTE_PGM_RSRC2:USER_SGPR: 2
; COMPUTE_PGM_RSRC2:TRAP_HANDLER: 0
; COMPUTE_PGM_RSRC2:TGID_X_EN: 1
; COMPUTE_PGM_RSRC2:TGID_Y_EN: 0
; COMPUTE_PGM_RSRC2:TGID_Z_EN: 0
; COMPUTE_PGM_RSRC2:TIDIG_COMP_CNT: 0
	.text
	.p2alignl 7, 3214868480
	.fill 96, 4, 3214868480
	.type	__hip_cuid_4caea9e2edfb3b72,@object ; @__hip_cuid_4caea9e2edfb3b72
	.section	.bss,"aw",@nobits
	.globl	__hip_cuid_4caea9e2edfb3b72
__hip_cuid_4caea9e2edfb3b72:
	.byte	0                               ; 0x0
	.size	__hip_cuid_4caea9e2edfb3b72, 1

	.ident	"AMD clang version 19.0.0git (https://github.com/RadeonOpenCompute/llvm-project roc-6.4.0 25133 c7fe45cf4b819c5991fe208aaa96edf142730f1d)"
	.section	".note.GNU-stack","",@progbits
	.addrsig
	.addrsig_sym __hip_cuid_4caea9e2edfb3b72
	.amdgpu_metadata
---
amdhsa.kernels:
  - .args:
      - .actual_access:  read_only
        .address_space:  global
        .offset:         0
        .size:           8
        .value_kind:     global_buffer
      - .offset:         8
        .size:           8
        .value_kind:     by_value
      - .actual_access:  read_only
        .address_space:  global
        .offset:         16
        .size:           8
        .value_kind:     global_buffer
      - .actual_access:  read_only
        .address_space:  global
        .offset:         24
        .size:           8
        .value_kind:     global_buffer
      - .offset:         32
        .size:           8
        .value_kind:     by_value
      - .actual_access:  read_only
        .address_space:  global
        .offset:         40
        .size:           8
        .value_kind:     global_buffer
      - .actual_access:  read_only
        .address_space:  global
        .offset:         48
        .size:           8
        .value_kind:     global_buffer
      - .offset:         56
        .size:           4
        .value_kind:     by_value
      - .actual_access:  read_only
        .address_space:  global
        .offset:         64
        .size:           8
        .value_kind:     global_buffer
      - .actual_access:  read_only
        .address_space:  global
        .offset:         72
        .size:           8
        .value_kind:     global_buffer
      - .address_space:  global
        .offset:         80
        .size:           8
        .value_kind:     global_buffer
    .group_segment_fixed_size: 0
    .kernarg_segment_align: 8
    .kernarg_segment_size: 88
    .language:       OpenCL C
    .language_version:
      - 2
      - 0
    .max_flat_workgroup_size: 108
    .name:           fft_rtc_fwd_len3240_factors_3_3_10_6_6_wgs_108_tpt_108_halfLds_dp_ip_CI_unitstride_sbrr_dirReg
    .private_segment_fixed_size: 0
    .sgpr_count:     34
    .sgpr_spill_count: 0
    .symbol:         fft_rtc_fwd_len3240_factors_3_3_10_6_6_wgs_108_tpt_108_halfLds_dp_ip_CI_unitstride_sbrr_dirReg.kd
    .uniform_work_group_size: 1
    .uses_dynamic_stack: false
    .vgpr_count:     240
    .vgpr_spill_count: 0
    .wavefront_size: 32
    .workgroup_processor_mode: 1
amdhsa.target:   amdgcn-amd-amdhsa--gfx1201
amdhsa.version:
  - 1
  - 2
...

	.end_amdgpu_metadata
